;; amdgpu-corpus repo=ROCm/rocFFT kind=compiled arch=gfx906 opt=O3
	.text
	.amdgcn_target "amdgcn-amd-amdhsa--gfx906"
	.amdhsa_code_object_version 6
	.protected	fft_rtc_fwd_len2023_factors_17_7_17_wgs_119_tpt_119_halfLds_dp_ip_CI_sbrr_dirReg ; -- Begin function fft_rtc_fwd_len2023_factors_17_7_17_wgs_119_tpt_119_halfLds_dp_ip_CI_sbrr_dirReg
	.globl	fft_rtc_fwd_len2023_factors_17_7_17_wgs_119_tpt_119_halfLds_dp_ip_CI_sbrr_dirReg
	.p2align	8
	.type	fft_rtc_fwd_len2023_factors_17_7_17_wgs_119_tpt_119_halfLds_dp_ip_CI_sbrr_dirReg,@function
fft_rtc_fwd_len2023_factors_17_7_17_wgs_119_tpt_119_halfLds_dp_ip_CI_sbrr_dirReg: ; @fft_rtc_fwd_len2023_factors_17_7_17_wgs_119_tpt_119_halfLds_dp_ip_CI_sbrr_dirReg
; %bb.0:
	s_load_dwordx2 s[14:15], s[4:5], 0x18
	s_load_dwordx4 s[8:11], s[4:5], 0x0
	s_load_dwordx2 s[12:13], s[4:5], 0x50
	v_mul_u32_u24_e32 v1, 0x227, v0
	v_add_u32_sdwa v5, s6, v1 dst_sel:DWORD dst_unused:UNUSED_PAD src0_sel:DWORD src1_sel:WORD_1
	s_waitcnt lgkmcnt(0)
	s_load_dwordx2 s[2:3], s[14:15], 0x0
	v_cmp_lt_u64_e64 s[0:1], s[10:11], 2
	v_mov_b32_e32 v3, 0
	v_mov_b32_e32 v1, 0
	;; [unrolled: 1-line block ×3, first 2 shown]
	s_and_b64 vcc, exec, s[0:1]
	v_mov_b32_e32 v2, 0
	s_cbranch_vccnz .LBB0_8
; %bb.1:
	s_load_dwordx2 s[0:1], s[4:5], 0x10
	s_add_u32 s6, s14, 8
	s_addc_u32 s7, s15, 0
	v_mov_b32_e32 v1, 0
	v_mov_b32_e32 v2, 0
	s_waitcnt lgkmcnt(0)
	s_add_u32 s16, s0, 8
	s_addc_u32 s17, s1, 0
	s_mov_b64 s[18:19], 1
.LBB0_2:                                ; =>This Inner Loop Header: Depth=1
	s_load_dwordx2 s[20:21], s[16:17], 0x0
                                        ; implicit-def: $vgpr7_vgpr8
	s_waitcnt lgkmcnt(0)
	v_or_b32_e32 v4, s21, v6
	v_cmp_ne_u64_e32 vcc, 0, v[3:4]
	s_and_saveexec_b64 s[0:1], vcc
	s_xor_b64 s[22:23], exec, s[0:1]
	s_cbranch_execz .LBB0_4
; %bb.3:                                ;   in Loop: Header=BB0_2 Depth=1
	v_cvt_f32_u32_e32 v4, s20
	v_cvt_f32_u32_e32 v7, s21
	s_sub_u32 s0, 0, s20
	s_subb_u32 s1, 0, s21
	v_mac_f32_e32 v4, 0x4f800000, v7
	v_rcp_f32_e32 v4, v4
	v_mul_f32_e32 v4, 0x5f7ffffc, v4
	v_mul_f32_e32 v7, 0x2f800000, v4
	v_trunc_f32_e32 v7, v7
	v_mac_f32_e32 v4, 0xcf800000, v7
	v_cvt_u32_f32_e32 v7, v7
	v_cvt_u32_f32_e32 v4, v4
	v_mul_lo_u32 v8, s0, v7
	v_mul_hi_u32 v9, s0, v4
	v_mul_lo_u32 v11, s1, v4
	v_mul_lo_u32 v10, s0, v4
	v_add_u32_e32 v8, v9, v8
	v_add_u32_e32 v8, v8, v11
	v_mul_hi_u32 v9, v4, v10
	v_mul_lo_u32 v11, v4, v8
	v_mul_hi_u32 v13, v4, v8
	v_mul_hi_u32 v12, v7, v10
	v_mul_lo_u32 v10, v7, v10
	v_mul_hi_u32 v14, v7, v8
	v_add_co_u32_e32 v9, vcc, v9, v11
	v_addc_co_u32_e32 v11, vcc, 0, v13, vcc
	v_mul_lo_u32 v8, v7, v8
	v_add_co_u32_e32 v9, vcc, v9, v10
	v_addc_co_u32_e32 v9, vcc, v11, v12, vcc
	v_addc_co_u32_e32 v10, vcc, 0, v14, vcc
	v_add_co_u32_e32 v8, vcc, v9, v8
	v_addc_co_u32_e32 v9, vcc, 0, v10, vcc
	v_add_co_u32_e32 v4, vcc, v4, v8
	v_addc_co_u32_e32 v7, vcc, v7, v9, vcc
	v_mul_lo_u32 v8, s0, v7
	v_mul_hi_u32 v9, s0, v4
	v_mul_lo_u32 v10, s1, v4
	v_mul_lo_u32 v11, s0, v4
	v_add_u32_e32 v8, v9, v8
	v_add_u32_e32 v8, v8, v10
	v_mul_lo_u32 v12, v4, v8
	v_mul_hi_u32 v13, v4, v11
	v_mul_hi_u32 v14, v4, v8
	;; [unrolled: 1-line block ×3, first 2 shown]
	v_mul_lo_u32 v11, v7, v11
	v_mul_hi_u32 v9, v7, v8
	v_add_co_u32_e32 v12, vcc, v13, v12
	v_addc_co_u32_e32 v13, vcc, 0, v14, vcc
	v_mul_lo_u32 v8, v7, v8
	v_add_co_u32_e32 v11, vcc, v12, v11
	v_addc_co_u32_e32 v10, vcc, v13, v10, vcc
	v_addc_co_u32_e32 v9, vcc, 0, v9, vcc
	v_add_co_u32_e32 v8, vcc, v10, v8
	v_addc_co_u32_e32 v9, vcc, 0, v9, vcc
	v_add_co_u32_e32 v4, vcc, v4, v8
	v_addc_co_u32_e32 v9, vcc, v7, v9, vcc
	v_mad_u64_u32 v[7:8], s[0:1], v5, v9, 0
	v_mul_hi_u32 v10, v5, v4
	v_add_co_u32_e32 v11, vcc, v10, v7
	v_addc_co_u32_e32 v12, vcc, 0, v8, vcc
	v_mad_u64_u32 v[7:8], s[0:1], v6, v4, 0
	v_mad_u64_u32 v[9:10], s[0:1], v6, v9, 0
	v_add_co_u32_e32 v4, vcc, v11, v7
	v_addc_co_u32_e32 v4, vcc, v12, v8, vcc
	v_addc_co_u32_e32 v7, vcc, 0, v10, vcc
	v_add_co_u32_e32 v4, vcc, v4, v9
	v_addc_co_u32_e32 v9, vcc, 0, v7, vcc
	v_mul_lo_u32 v10, s21, v4
	v_mul_lo_u32 v11, s20, v9
	v_mad_u64_u32 v[7:8], s[0:1], s20, v4, 0
	v_add3_u32 v8, v8, v11, v10
	v_sub_u32_e32 v10, v6, v8
	v_mov_b32_e32 v11, s21
	v_sub_co_u32_e32 v7, vcc, v5, v7
	v_subb_co_u32_e64 v10, s[0:1], v10, v11, vcc
	v_subrev_co_u32_e64 v11, s[0:1], s20, v7
	v_subbrev_co_u32_e64 v10, s[0:1], 0, v10, s[0:1]
	v_cmp_le_u32_e64 s[0:1], s21, v10
	v_cndmask_b32_e64 v12, 0, -1, s[0:1]
	v_cmp_le_u32_e64 s[0:1], s20, v11
	v_cndmask_b32_e64 v11, 0, -1, s[0:1]
	v_cmp_eq_u32_e64 s[0:1], s21, v10
	v_cndmask_b32_e64 v10, v12, v11, s[0:1]
	v_add_co_u32_e64 v11, s[0:1], 2, v4
	v_addc_co_u32_e64 v12, s[0:1], 0, v9, s[0:1]
	v_add_co_u32_e64 v13, s[0:1], 1, v4
	v_addc_co_u32_e64 v14, s[0:1], 0, v9, s[0:1]
	v_subb_co_u32_e32 v8, vcc, v6, v8, vcc
	v_cmp_ne_u32_e64 s[0:1], 0, v10
	v_cmp_le_u32_e32 vcc, s21, v8
	v_cndmask_b32_e64 v10, v14, v12, s[0:1]
	v_cndmask_b32_e64 v12, 0, -1, vcc
	v_cmp_le_u32_e32 vcc, s20, v7
	v_cndmask_b32_e64 v7, 0, -1, vcc
	v_cmp_eq_u32_e32 vcc, s21, v8
	v_cndmask_b32_e32 v7, v12, v7, vcc
	v_cmp_ne_u32_e32 vcc, 0, v7
	v_cndmask_b32_e64 v7, v13, v11, s[0:1]
	v_cndmask_b32_e32 v8, v9, v10, vcc
	v_cndmask_b32_e32 v7, v4, v7, vcc
.LBB0_4:                                ;   in Loop: Header=BB0_2 Depth=1
	s_andn2_saveexec_b64 s[0:1], s[22:23]
	s_cbranch_execz .LBB0_6
; %bb.5:                                ;   in Loop: Header=BB0_2 Depth=1
	v_cvt_f32_u32_e32 v4, s20
	s_sub_i32 s22, 0, s20
	v_rcp_iflag_f32_e32 v4, v4
	v_mul_f32_e32 v4, 0x4f7ffffe, v4
	v_cvt_u32_f32_e32 v4, v4
	v_mul_lo_u32 v7, s22, v4
	v_mul_hi_u32 v7, v4, v7
	v_add_u32_e32 v4, v4, v7
	v_mul_hi_u32 v4, v5, v4
	v_mul_lo_u32 v7, v4, s20
	v_add_u32_e32 v8, 1, v4
	v_sub_u32_e32 v7, v5, v7
	v_subrev_u32_e32 v9, s20, v7
	v_cmp_le_u32_e32 vcc, s20, v7
	v_cndmask_b32_e32 v7, v7, v9, vcc
	v_cndmask_b32_e32 v4, v4, v8, vcc
	v_add_u32_e32 v8, 1, v4
	v_cmp_le_u32_e32 vcc, s20, v7
	v_cndmask_b32_e32 v7, v4, v8, vcc
	v_mov_b32_e32 v8, v3
.LBB0_6:                                ;   in Loop: Header=BB0_2 Depth=1
	s_or_b64 exec, exec, s[0:1]
	v_mul_lo_u32 v4, v8, s20
	v_mul_lo_u32 v11, v7, s21
	v_mad_u64_u32 v[9:10], s[0:1], v7, s20, 0
	s_load_dwordx2 s[0:1], s[6:7], 0x0
	s_add_u32 s18, s18, 1
	v_add3_u32 v4, v10, v11, v4
	v_sub_co_u32_e32 v5, vcc, v5, v9
	v_subb_co_u32_e32 v4, vcc, v6, v4, vcc
	s_waitcnt lgkmcnt(0)
	v_mul_lo_u32 v4, s0, v4
	v_mul_lo_u32 v6, s1, v5
	v_mad_u64_u32 v[1:2], s[0:1], s0, v5, v[1:2]
	s_addc_u32 s19, s19, 0
	s_add_u32 s6, s6, 8
	v_add3_u32 v2, v6, v2, v4
	v_mov_b32_e32 v4, s10
	v_mov_b32_e32 v5, s11
	s_addc_u32 s7, s7, 0
	v_cmp_ge_u64_e32 vcc, s[18:19], v[4:5]
	s_add_u32 s16, s16, 8
	s_addc_u32 s17, s17, 0
	s_cbranch_vccnz .LBB0_9
; %bb.7:                                ;   in Loop: Header=BB0_2 Depth=1
	v_mov_b32_e32 v5, v7
	v_mov_b32_e32 v6, v8
	s_branch .LBB0_2
.LBB0_8:
	v_mov_b32_e32 v8, v6
	v_mov_b32_e32 v7, v5
.LBB0_9:
	s_lshl_b64 s[0:1], s[10:11], 3
	s_add_u32 s0, s14, s0
	s_addc_u32 s1, s15, s1
	s_load_dwordx2 s[6:7], s[0:1], 0x0
	s_load_dwordx2 s[10:11], s[4:5], 0x20
                                        ; implicit-def: $vgpr111
                                        ; implicit-def: $vgpr110
	s_waitcnt lgkmcnt(0)
	v_mad_u64_u32 v[1:2], s[0:1], s6, v7, v[1:2]
	s_mov_b32 s0, 0x226b903
	v_mul_lo_u32 v3, s6, v8
	v_mul_lo_u32 v4, s7, v7
	v_mul_hi_u32 v5, v0, s0
	v_cmp_gt_u64_e32 vcc, s[10:11], v[7:8]
	v_cmp_le_u64_e64 s[0:1], s[10:11], v[7:8]
	v_add3_u32 v2, v4, v2, v3
	v_mul_u32_u24_e32 v3, 0x77, v5
	v_sub_u32_e32 v116, v0, v3
                                        ; implicit-def: $sgpr6
	s_and_saveexec_b64 s[4:5], s[0:1]
	s_xor_b64 s[0:1], exec, s[4:5]
; %bb.10:
	v_add_u32_e32 v111, 0x77, v116
	v_add_u32_e32 v110, 0xee, v116
	s_mov_b32 s6, 0
; %bb.11:
	s_or_saveexec_b64 s[4:5], s[0:1]
	v_lshlrev_b64 v[92:93], 4, v[1:2]
	v_mov_b32_e32 v178, s6
                                        ; implicit-def: $vgpr42_vgpr43
                                        ; implicit-def: $vgpr50_vgpr51
                                        ; implicit-def: $vgpr46_vgpr47
                                        ; implicit-def: $vgpr38_vgpr39
                                        ; implicit-def: $vgpr30_vgpr31
                                        ; implicit-def: $vgpr22_vgpr23
                                        ; implicit-def: $vgpr14_vgpr15
                                        ; implicit-def: $vgpr6_vgpr7
                                        ; implicit-def: $vgpr2_vgpr3
                                        ; implicit-def: $vgpr10_vgpr11
                                        ; implicit-def: $vgpr18_vgpr19
                                        ; implicit-def: $vgpr26_vgpr27
                                        ; implicit-def: $vgpr34_vgpr35
                                        ; implicit-def: $vgpr58_vgpr59
                                        ; implicit-def: $vgpr62_vgpr63
                                        ; implicit-def: $vgpr66_vgpr67
                                        ; implicit-def: $vgpr54_vgpr55
	s_xor_b64 exec, exec, s[4:5]
	s_cbranch_execz .LBB0_13
; %bb.12:
	v_mad_u64_u32 v[0:1], s[0:1], s2, v116, 0
	v_add_u32_e32 v111, 0x77, v116
	v_mov_b32_e32 v4, s13
	v_mad_u64_u32 v[1:2], s[0:1], s3, v116, v[1:2]
	v_mad_u64_u32 v[2:3], s[0:1], s2, v111, 0
	v_add_co_u32_e64 v8, s[0:1], s12, v92
	v_addc_co_u32_e64 v9, s[0:1], v4, v93, s[0:1]
	v_mad_u64_u32 v[3:4], s[0:1], s3, v111, v[3:4]
	v_add_u32_e32 v110, 0xee, v116
	v_mad_u64_u32 v[4:5], s[0:1], s2, v110, 0
	v_lshlrev_b64 v[0:1], 4, v[0:1]
	v_mov_b32_e32 v178, v116
	v_add_co_u32_e64 v40, s[0:1], v8, v0
	v_addc_co_u32_e64 v41, s[0:1], v9, v1, s[0:1]
	v_lshlrev_b64 v[0:1], 4, v[2:3]
	v_mov_b32_e32 v2, v5
	v_mad_u64_u32 v[2:3], s[0:1], s3, v110, v[2:3]
	v_add_u32_e32 v3, 0x165, v116
	v_mad_u64_u32 v[6:7], s[0:1], s2, v3, 0
	v_add_co_u32_e64 v42, s[0:1], v8, v0
	v_mov_b32_e32 v5, v2
	v_mov_b32_e32 v2, v7
	v_addc_co_u32_e64 v43, s[0:1], v9, v1, s[0:1]
	v_lshlrev_b64 v[0:1], 4, v[4:5]
	v_mad_u64_u32 v[2:3], s[0:1], s3, v3, v[2:3]
	v_add_u32_e32 v5, 0x1dc, v116
	v_mad_u64_u32 v[3:4], s[0:1], s2, v5, 0
	v_add_co_u32_e64 v48, s[0:1], v8, v0
	v_mov_b32_e32 v7, v2
	v_mov_b32_e32 v2, v4
	v_addc_co_u32_e64 v49, s[0:1], v9, v1, s[0:1]
	v_lshlrev_b64 v[0:1], 4, v[6:7]
	v_mad_u64_u32 v[4:5], s[0:1], s3, v5, v[2:3]
	v_add_u32_e32 v7, 0x253, v116
	v_mad_u64_u32 v[5:6], s[0:1], s2, v7, 0
	v_add_co_u32_e64 v50, s[0:1], v8, v0
	v_mov_b32_e32 v2, v6
	v_addc_co_u32_e64 v51, s[0:1], v9, v1, s[0:1]
	v_lshlrev_b64 v[0:1], 4, v[3:4]
	v_mad_u64_u32 v[2:3], s[0:1], s3, v7, v[2:3]
	v_add_u32_e32 v7, 0x2ca, v116
	v_mad_u64_u32 v[3:4], s[0:1], s2, v7, 0
	v_add_co_u32_e64 v68, s[0:1], v8, v0
	v_mov_b32_e32 v6, v2
	v_mov_b32_e32 v2, v4
	v_addc_co_u32_e64 v69, s[0:1], v9, v1, s[0:1]
	v_lshlrev_b64 v[0:1], 4, v[5:6]
	v_mad_u64_u32 v[4:5], s[0:1], s3, v7, v[2:3]
	v_add_u32_e32 v7, 0x341, v116
	v_mad_u64_u32 v[5:6], s[0:1], s2, v7, 0
	v_add_co_u32_e64 v70, s[0:1], v8, v0
	;; [unrolled: 15-line block ×6, first 2 shown]
	v_mov_b32_e32 v2, v6
	v_addc_co_u32_e64 v87, s[0:1], v9, v1, s[0:1]
	v_lshlrev_b64 v[0:1], 4, v[3:4]
	v_mad_u64_u32 v[2:3], s[0:1], s3, v7, v[2:3]
	v_add_u32_e32 v7, 0x770, v116
	v_mad_u64_u32 v[3:4], s[0:1], s2, v7, 0
	v_add_co_u32_e64 v88, s[0:1], v8, v0
	v_mov_b32_e32 v6, v2
	v_mov_b32_e32 v2, v4
	v_addc_co_u32_e64 v89, s[0:1], v9, v1, s[0:1]
	v_lshlrev_b64 v[0:1], 4, v[5:6]
	v_mad_u64_u32 v[4:5], s[0:1], s3, v7, v[2:3]
	v_add_co_u32_e64 v90, s[0:1], v8, v0
	v_addc_co_u32_e64 v91, s[0:1], v9, v1, s[0:1]
	v_lshlrev_b64 v[0:1], 4, v[3:4]
	v_add_co_u32_e64 v94, s[0:1], v8, v0
	v_addc_co_u32_e64 v95, s[0:1], v9, v1, s[0:1]
	global_load_dwordx4 v[52:55], v[40:41], off
	global_load_dwordx4 v[64:67], v[42:43], off
	;; [unrolled: 1-line block ×15, first 2 shown]
                                        ; kill: killed $vgpr78 killed $vgpr79
                                        ; kill: killed $vgpr80 killed $vgpr81
                                        ; kill: killed $vgpr48 killed $vgpr49
                                        ; kill: killed $vgpr82 killed $vgpr83
                                        ; kill: killed $vgpr50 killed $vgpr51
                                        ; kill: killed $vgpr84 killed $vgpr85
                                        ; kill: killed $vgpr68 killed $vgpr69
                                        ; kill: killed $vgpr42 killed $vgpr43
                                        ; kill: killed $vgpr86 killed $vgpr87
                                        ; kill: killed $vgpr70 killed $vgpr71
                                        ; kill: killed $vgpr88 killed $vgpr89
                                        ; kill: killed $vgpr72 killed $vgpr73
                                        ; kill: killed $vgpr40 killed $vgpr41
                                        ; kill: killed $vgpr74 killed $vgpr75
                                        ; kill: killed $vgpr76 killed $vgpr77
	global_load_dwordx4 v[48:51], v[90:91], off
	global_load_dwordx4 v[40:43], v[94:95], off
.LBB0_13:
	s_or_b64 exec, exec, s[4:5]
	s_waitcnt vmcnt(0)
	v_add_f64 v[70:71], v[40:41], v[64:65]
	s_mov_b32 s10, 0x370991
	s_mov_b32 s18, 0x75d4884
	;; [unrolled: 1-line block ×4, first 2 shown]
	v_add_f64 v[72:73], v[66:67], -v[42:43]
	v_add_f64 v[74:75], v[48:49], v[60:61]
	s_mov_b32 s28, 0x5d8e7cdc
	v_mul_f64 v[78:79], v[70:71], s[10:11]
	v_mul_f64 v[80:81], v[70:71], s[18:19]
	s_mov_b32 s26, 0x2a9d6da3
	s_mov_b32 s4, 0x2b2883cd
	;; [unrolled: 1-line block ×19, first 2 shown]
	v_add_f64 v[76:77], v[62:63], -v[50:51]
	v_mul_f64 v[82:83], v[70:71], s[4:5]
	v_mul_f64 v[84:85], v[70:71], s[6:7]
	;; [unrolled: 1-line block ×8, first 2 shown]
	v_fma_f64 v[104:105], v[72:73], s[28:29], v[78:79]
	v_fma_f64 v[78:79], v[72:73], s[36:37], v[78:79]
	;; [unrolled: 1-line block ×4, first 2 shown]
	s_mov_b32 s20, 0x7c9e640b
	s_mov_b32 s14, 0xeb564b22
	;; [unrolled: 1-line block ×24, first 2 shown]
	v_mul_f64 v[98:99], v[74:75], s[22:23]
	v_mul_f64 v[100:101], v[74:75], s[40:41]
	;; [unrolled: 1-line block ×3, first 2 shown]
	v_fma_f64 v[108:109], v[72:73], s[20:21], v[82:83]
	v_fma_f64 v[82:83], v[72:73], s[52:53], v[82:83]
	;; [unrolled: 1-line block ×16, first 2 shown]
	v_add_f64 v[104:105], v[52:53], v[104:105]
	v_add_f64 v[78:79], v[52:53], v[78:79]
	;; [unrolled: 1-line block ×4, first 2 shown]
	v_fma_f64 v[125:126], v[76:77], s[46:47], v[98:99]
	v_fma_f64 v[98:99], v[76:77], s[30:31], v[98:99]
	v_add_f64 v[106:107], v[52:53], v[106:107]
	v_add_f64 v[108:109], v[52:53], v[108:109]
	;; [unrolled: 1-line block ×15, first 2 shown]
	v_fma_f64 v[94:95], v[76:77], s[56:57], v[100:101]
	v_add_f64 v[80:81], v[96:97], v[80:81]
	v_fma_f64 v[96:97], v[76:77], s[42:43], v[100:101]
	v_fma_f64 v[100:101], v[76:77], s[38:39], v[102:103]
	v_add_f64 v[78:79], v[123:124], v[106:107]
	v_add_f64 v[82:83], v[98:99], v[82:83]
	v_mul_f64 v[98:99], v[74:75], s[16:17]
	v_fma_f64 v[102:103], v[76:77], s[54:55], v[102:103]
	v_mul_f64 v[106:107], v[74:75], s[4:5]
	v_add_f64 v[104:105], v[125:126], v[108:109]
	v_add_f64 v[84:85], v[96:97], v[84:85]
	;; [unrolled: 1-line block ×5, first 2 shown]
	v_mul_f64 v[74:75], v[74:75], s[10:11]
	v_fma_f64 v[108:109], v[76:77], s[24:25], v[98:99]
	v_add_f64 v[86:87], v[102:103], v[86:87]
	v_fma_f64 v[98:99], v[76:77], s[50:51], v[98:99]
	v_fma_f64 v[102:103], v[76:77], s[52:53], v[106:107]
	v_add_f64 v[112:113], v[58:59], -v[46:47]
	v_mul_f64 v[114:115], v[100:101], s[4:5]
	v_fma_f64 v[106:107], v[76:77], s[20:21], v[106:107]
	v_fma_f64 v[123:124], v[76:77], s[36:37], v[74:75]
	v_add_f64 v[108:109], v[108:109], v[117:118]
	v_fma_f64 v[74:75], v[76:77], s[28:29], v[74:75]
	v_add_f64 v[76:77], v[98:99], v[88:89]
	v_mul_f64 v[88:89], v[100:101], s[22:23]
	v_add_f64 v[98:99], v[102:103], v[119:120]
	v_fma_f64 v[102:103], v[112:113], s[20:21], v[114:115]
	v_mul_f64 v[117:118], v[100:101], s[40:41]
	v_add_f64 v[90:91], v[106:107], v[90:91]
	v_add_f64 v[106:107], v[123:124], v[121:122]
	;; [unrolled: 1-line block ×3, first 2 shown]
	v_fma_f64 v[74:75], v[112:113], s[52:53], v[114:115]
	v_fma_f64 v[114:115], v[112:113], s[46:47], v[88:89]
	v_mul_f64 v[119:120], v[100:101], s[16:17]
	v_fma_f64 v[88:89], v[112:113], s[30:31], v[88:89]
	v_add_f64 v[70:71], v[102:103], v[70:71]
	v_mul_f64 v[102:103], v[100:101], s[18:19]
	v_fma_f64 v[121:122], v[112:113], s[42:43], v[117:118]
	v_fma_f64 v[117:118], v[112:113], s[56:57], v[117:118]
	v_add_f64 v[72:73], v[74:75], v[72:73]
	v_add_f64 v[74:75], v[114:115], v[78:79]
	v_fma_f64 v[78:79], v[112:113], s[24:25], v[119:120]
	v_add_f64 v[80:81], v[88:89], v[80:81]
	v_fma_f64 v[88:89], v[112:113], s[50:51], v[119:120]
	v_fma_f64 v[114:115], v[112:113], s[48:49], v[102:103]
	;; [unrolled: 1-line block ×3, first 2 shown]
	v_add_f64 v[82:83], v[117:118], v[82:83]
	v_mul_f64 v[117:118], v[100:101], s[10:11]
	v_add_f64 v[104:105], v[121:122], v[104:105]
	v_add_f64 v[78:79], v[78:79], v[94:95]
	v_mul_f64 v[94:95], v[100:101], s[6:7]
	v_add_f64 v[84:85], v[88:89], v[84:85]
	v_add_f64 v[88:89], v[114:115], v[96:97]
	;; [unrolled: 1-line block ×3, first 2 shown]
	v_mul_f64 v[100:101], v[100:101], s[34:35]
	v_add_f64 v[86:87], v[102:103], v[86:87]
	v_fma_f64 v[102:103], v[112:113], s[36:37], v[117:118]
	v_fma_f64 v[114:115], v[112:113], s[28:29], v[117:118]
	;; [unrolled: 1-line block ×4, first 2 shown]
	v_add_f64 v[119:120], v[34:35], -v[38:39]
	v_mul_f64 v[121:122], v[96:97], s[6:7]
	v_fma_f64 v[123:124], v[112:113], s[54:55], v[100:101]
	v_fma_f64 v[100:101], v[112:113], s[38:39], v[100:101]
	v_add_f64 v[76:77], v[102:103], v[76:77]
	v_mul_f64 v[102:103], v[96:97], s[40:41]
	v_add_f64 v[108:109], v[114:115], v[108:109]
	v_add_f64 v[98:99], v[117:118], v[98:99]
	;; [unrolled: 1-line block ×3, first 2 shown]
	v_fma_f64 v[94:95], v[119:120], s[14:15], v[121:122]
	v_mul_f64 v[112:113], v[96:97], s[16:17]
	v_add_f64 v[52:53], v[100:101], v[52:53]
	v_fma_f64 v[100:101], v[119:120], s[44:45], v[121:122]
	v_fma_f64 v[114:115], v[119:120], s[56:57], v[102:103]
	v_mul_f64 v[117:118], v[96:97], s[10:11]
	v_fma_f64 v[102:103], v[119:120], s[42:43], v[102:103]
	v_add_f64 v[106:107], v[123:124], v[106:107]
	v_add_f64 v[70:71], v[94:95], v[70:71]
	v_mul_f64 v[94:95], v[96:97], s[4:5]
	v_fma_f64 v[121:122], v[119:120], s[24:25], v[112:113]
	v_fma_f64 v[112:113], v[119:120], s[50:51], v[112:113]
	v_add_f64 v[72:73], v[100:101], v[72:73]
	v_fma_f64 v[100:101], v[119:120], s[36:37], v[117:118]
	v_add_f64 v[80:81], v[102:103], v[80:81]
	;; [unrolled: 2-line block ×3, first 2 shown]
	v_fma_f64 v[114:115], v[119:120], s[20:21], v[94:95]
	v_fma_f64 v[94:95], v[119:120], s[52:53], v[94:95]
	v_add_f64 v[82:83], v[112:113], v[82:83]
	v_mul_f64 v[112:113], v[96:97], s[34:35]
	v_add_f64 v[78:79], v[100:101], v[78:79]
	v_mul_f64 v[100:101], v[96:97], s[22:23]
	v_add_f64 v[84:85], v[102:103], v[84:85]
	v_add_f64 v[102:103], v[28:29], v[24:25]
	;; [unrolled: 1-line block ×4, first 2 shown]
	v_mul_f64 v[96:97], v[96:97], s[18:19]
	v_fma_f64 v[114:115], v[119:120], s[54:55], v[112:113]
	v_add_f64 v[86:87], v[94:95], v[86:87]
	v_fma_f64 v[94:95], v[119:120], s[38:39], v[112:113]
	v_fma_f64 v[112:113], v[119:120], s[30:31], v[100:101]
	;; [unrolled: 1-line block ×3, first 2 shown]
	v_add_f64 v[117:118], v[26:27], -v[30:31]
	v_mul_f64 v[121:122], v[102:103], s[16:17]
	v_fma_f64 v[123:124], v[119:120], s[48:49], v[96:97]
	v_fma_f64 v[96:97], v[119:120], s[26:27], v[96:97]
	v_add_f64 v[108:109], v[114:115], v[108:109]
	v_add_f64 v[76:77], v[94:95], v[76:77]
	v_mul_f64 v[94:95], v[102:103], s[34:35]
	v_add_f64 v[98:99], v[112:113], v[98:99]
	v_add_f64 v[90:91], v[100:101], v[90:91]
	v_fma_f64 v[100:101], v[117:118], s[50:51], v[121:122]
	v_mul_f64 v[112:113], v[102:103], s[18:19]
	v_add_f64 v[52:53], v[96:97], v[52:53]
	v_fma_f64 v[96:97], v[117:118], s[24:25], v[121:122]
	v_mul_f64 v[119:120], v[102:103], s[4:5]
	v_fma_f64 v[114:115], v[117:118], s[38:39], v[94:95]
	v_fma_f64 v[94:95], v[117:118], s[54:55], v[94:95]
	v_add_f64 v[68:69], v[60:61], v[68:69]
	v_add_f64 v[70:71], v[100:101], v[70:71]
	v_mul_f64 v[100:101], v[102:103], s[40:41]
	v_fma_f64 v[121:122], v[117:118], s[48:49], v[112:113]
	v_fma_f64 v[112:113], v[117:118], s[26:27], v[112:113]
	v_add_f64 v[72:73], v[96:97], v[72:73]
	v_add_f64 v[74:75], v[114:115], v[74:75]
	v_fma_f64 v[96:97], v[117:118], s[20:21], v[119:120]
	v_add_f64 v[80:81], v[94:95], v[80:81]
	v_fma_f64 v[94:95], v[117:118], s[52:53], v[119:120]
	v_fma_f64 v[114:115], v[117:118], s[56:57], v[100:101]
	;; [unrolled: 1-line block ×3, first 2 shown]
	v_add_f64 v[82:83], v[112:113], v[82:83]
	v_mul_f64 v[112:113], v[102:103], s[6:7]
	v_add_f64 v[106:107], v[123:124], v[106:107]
	v_add_f64 v[78:79], v[96:97], v[78:79]
	v_mul_f64 v[96:97], v[102:103], s[10:11]
	v_add_f64 v[84:85], v[94:95], v[84:85]
	;; [unrolled: 3-line block ×3, first 2 shown]
	v_fma_f64 v[100:101], v[117:118], s[14:15], v[112:113]
	v_add_f64 v[104:105], v[121:122], v[104:105]
	v_add_f64 v[88:89], v[114:115], v[88:89]
	v_fma_f64 v[114:115], v[117:118], s[44:45], v[112:113]
	v_fma_f64 v[112:113], v[117:118], s[28:29], v[96:97]
	;; [unrolled: 1-line block ×3, first 2 shown]
	v_add_f64 v[119:120], v[18:19], -v[22:23]
	v_mul_f64 v[121:122], v[94:95], s[22:23]
	v_fma_f64 v[123:124], v[117:118], s[46:47], v[102:103]
	v_fma_f64 v[102:103], v[117:118], s[30:31], v[102:103]
	v_add_f64 v[76:77], v[100:101], v[76:77]
	v_mul_f64 v[100:101], v[94:95], s[16:17]
	v_add_f64 v[68:69], v[56:57], v[68:69]
	v_add_f64 v[108:109], v[114:115], v[108:109]
	;; [unrolled: 1-line block ×3, first 2 shown]
	v_fma_f64 v[96:97], v[119:120], s[46:47], v[121:122]
	v_mul_f64 v[114:115], v[94:95], s[34:35]
	v_add_f64 v[52:53], v[102:103], v[52:53]
	v_fma_f64 v[102:103], v[119:120], s[30:31], v[121:122]
	v_fma_f64 v[117:118], v[119:120], s[24:25], v[100:101]
	;; [unrolled: 1-line block ×3, first 2 shown]
	v_add_f64 v[68:69], v[32:33], v[68:69]
	v_add_f64 v[98:99], v[112:113], v[98:99]
	v_mul_f64 v[112:113], v[94:95], s[10:11]
	v_add_f64 v[70:71], v[96:97], v[70:71]
	v_mul_f64 v[96:97], v[94:95], s[6:7]
	v_add_f64 v[72:73], v[102:103], v[72:73]
	v_fma_f64 v[102:103], v[119:120], s[54:55], v[114:115]
	v_add_f64 v[80:81], v[100:101], v[80:81]
	v_fma_f64 v[100:101], v[119:120], s[38:39], v[114:115]
	;; [unrolled: 2-line block ×3, first 2 shown]
	v_fma_f64 v[112:113], v[119:120], s[36:37], v[112:113]
	v_fma_f64 v[114:115], v[119:120], s[44:45], v[96:97]
	;; [unrolled: 1-line block ×3, first 2 shown]
	v_add_f64 v[78:79], v[102:103], v[78:79]
	v_mul_f64 v[102:103], v[94:95], s[40:41]
	v_add_f64 v[84:85], v[100:101], v[84:85]
	v_add_f64 v[100:101], v[12:13], v[8:9]
	v_add_f64 v[68:69], v[16:17], v[68:69]
	v_add_f64 v[74:75], v[117:118], v[74:75]
	v_add_f64 v[104:105], v[121:122], v[104:105]
	v_add_f64 v[82:83], v[112:113], v[82:83]
	v_mul_f64 v[112:113], v[94:95], s[18:19]
	v_add_f64 v[86:87], v[96:97], v[86:87]
	v_fma_f64 v[96:97], v[119:120], s[56:57], v[102:103]
	v_fma_f64 v[102:103], v[119:120], s[42:43], v[102:103]
	v_add_f64 v[117:118], v[10:11], -v[14:15]
	v_mul_f64 v[121:122], v[100:101], s[34:35]
	v_add_f64 v[68:69], v[8:9], v[68:69]
	v_mul_f64 v[94:95], v[94:95], s[4:5]
	v_add_f64 v[88:89], v[114:115], v[88:89]
	v_fma_f64 v[114:115], v[119:120], s[26:27], v[112:113]
	v_fma_f64 v[112:113], v[119:120], s[48:49], v[112:113]
	v_add_f64 v[96:97], v[96:97], v[98:99]
	v_mul_f64 v[98:99], v[100:101], s[4:5]
	v_add_f64 v[90:91], v[102:103], v[90:91]
	v_fma_f64 v[102:103], v[117:118], s[54:55], v[121:122]
	v_add_f64 v[68:69], v[0:1], v[68:69]
	v_add_f64 v[106:107], v[123:124], v[106:107]
	v_fma_f64 v[123:124], v[119:120], s[52:53], v[94:95]
	v_fma_f64 v[94:95], v[119:120], s[20:21], v[94:95]
	v_add_f64 v[76:77], v[112:113], v[76:77]
	v_mul_f64 v[112:113], v[100:101], s[6:7]
	v_fma_f64 v[119:120], v[117:118], s[52:53], v[98:99]
	v_fma_f64 v[98:99], v[117:118], s[20:21], v[98:99]
	v_add_f64 v[70:71], v[102:103], v[70:71]
	v_mul_f64 v[102:103], v[100:101], s[10:11]
	v_add_f64 v[68:69], v[4:5], v[68:69]
	v_add_f64 v[108:109], v[114:115], v[108:109]
	v_fma_f64 v[114:115], v[117:118], s[38:39], v[121:122]
	v_add_f64 v[52:53], v[94:95], v[52:53]
	v_mul_f64 v[94:95], v[100:101], s[22:23]
	v_fma_f64 v[121:122], v[117:118], s[14:15], v[112:113]
	v_fma_f64 v[112:113], v[117:118], s[44:45], v[112:113]
	v_add_f64 v[80:81], v[98:99], v[80:81]
	v_fma_f64 v[98:99], v[117:118], s[28:29], v[102:103]
	v_add_f64 v[68:69], v[12:13], v[68:69]
	v_add_f64 v[72:73], v[114:115], v[72:73]
	v_add_f64 v[74:75], v[119:120], v[74:75]
	v_fma_f64 v[114:115], v[117:118], s[30:31], v[94:95]
	v_mul_f64 v[119:120], v[100:101], s[40:41]
	v_fma_f64 v[94:95], v[117:118], s[46:47], v[94:95]
	v_add_f64 v[82:83], v[112:113], v[82:83]
	v_fma_f64 v[102:103], v[117:118], s[36:37], v[102:103]
	v_mul_f64 v[112:113], v[100:101], s[18:19]
	v_add_f64 v[88:89], v[98:99], v[88:89]
	v_add_f64 v[98:99], v[4:5], v[0:1]
	;; [unrolled: 1-line block ×4, first 2 shown]
	v_fma_f64 v[114:115], v[117:118], s[42:43], v[119:120]
	v_add_f64 v[104:105], v[121:122], v[104:105]
	v_add_f64 v[84:85], v[94:95], v[84:85]
	v_fma_f64 v[94:95], v[117:118], s[56:57], v[119:120]
	v_mul_f64 v[100:101], v[100:101], s[16:17]
	v_add_f64 v[86:87], v[102:103], v[86:87]
	v_fma_f64 v[102:103], v[117:118], s[48:49], v[112:113]
	v_fma_f64 v[112:113], v[117:118], s[26:27], v[112:113]
	v_add_f64 v[119:120], v[2:3], -v[6:7]
	v_mul_f64 v[121:122], v[98:99], s[40:41]
	v_add_f64 v[68:69], v[28:29], v[68:69]
	v_add_f64 v[76:77], v[114:115], v[76:77]
	v_mul_f64 v[114:115], v[98:99], s[10:11]
	v_add_f64 v[106:107], v[123:124], v[106:107]
	v_add_f64 v[108:109], v[94:95], v[108:109]
	v_fma_f64 v[94:95], v[117:118], s[50:51], v[100:101]
	v_add_f64 v[102:103], v[102:103], v[96:97]
	v_add_f64 v[90:91], v[112:113], v[90:91]
	v_fma_f64 v[96:97], v[117:118], s[24:25], v[100:101]
	v_mul_f64 v[112:113], v[98:99], s[34:35]
	v_fma_f64 v[117:118], v[119:120], s[42:43], v[121:122]
	v_add_f64 v[68:69], v[36:37], v[68:69]
	v_fma_f64 v[100:101], v[119:120], s[56:57], v[121:122]
	v_fma_f64 v[121:122], v[119:120], s[36:37], v[114:115]
	;; [unrolled: 1-line block ×3, first 2 shown]
	v_mul_f64 v[123:124], v[98:99], s[18:19]
	v_add_f64 v[106:107], v[94:95], v[106:107]
	v_add_f64 v[125:126], v[96:97], v[52:53]
	v_fma_f64 v[52:53], v[119:120], s[54:55], v[112:113]
	v_add_f64 v[94:95], v[117:118], v[72:73]
	v_fma_f64 v[72:73], v[119:120], s[38:39], v[112:113]
	v_add_f64 v[68:69], v[44:45], v[68:69]
	v_add_f64 v[70:71], v[100:101], v[70:71]
	;; [unrolled: 1-line block ×3, first 2 shown]
	v_fma_f64 v[80:81], v[119:120], s[48:49], v[123:124]
	v_fma_f64 v[100:101], v[119:120], s[26:27], v[123:124]
	v_mul_f64 v[112:113], v[98:99], s[22:23]
	v_add_f64 v[104:105], v[52:53], v[104:105]
	v_mul_f64 v[114:115], v[98:99], s[4:5]
	v_add_f64 v[52:53], v[72:73], v[82:83]
	v_mul_f64 v[72:73], v[98:99], s[16:17]
	v_mul_f64 v[82:83], v[98:99], s[6:7]
	v_add_f64 v[68:69], v[48:49], v[68:69]
	v_add_f64 v[78:79], v[80:81], v[78:79]
	;; [unrolled: 1-line block ×3, first 2 shown]
	v_fma_f64 v[84:85], v[119:120], s[46:47], v[112:113]
	v_fma_f64 v[98:99], v[119:120], s[30:31], v[112:113]
	;; [unrolled: 1-line block ×8, first 2 shown]
	v_add_f64 v[68:69], v[40:41], v[68:69]
	v_add_f64 v[74:75], v[121:122], v[74:75]
	;; [unrolled: 1-line block ×10, first 2 shown]
	s_movk_i32 s0, 0x88
	v_mad_u32_u24 v112, v116, s0, 0
	ds_write2_b64 v112, v[68:69], v[70:71] offset1:1
	ds_write2_b64 v112, v[74:75], v[104:105] offset0:2 offset1:3
	ds_write2_b64 v112, v[78:79], v[84:85] offset0:4 offset1:5
	;; [unrolled: 1-line block ×7, first 2 shown]
	ds_write_b64 v112, v[94:95] offset:128
	v_lshlrev_b32_e32 v68, 7, v116
	v_sub_u32_e32 v117, v112, v68
	v_add_u32_e32 v113, 0x800, v117
	v_add_u32_e32 v114, 0x1000, v117
	v_add_u32_e32 v115, 0x1800, v117
	v_add_u32_e32 v120, 0x2000, v117
	v_add_u32_e32 v121, 0x2c00, v117
	v_add_u32_e32 v122, 0x3400, v117
	s_waitcnt lgkmcnt(0)
	s_barrier
	ds_read2_b64 v[68:71], v113 offset0:33 offset1:152
	ds_read2_b64 v[72:75], v114 offset0:66 offset1:185
	;; [unrolled: 1-line block ×6, first 2 shown]
	v_lshl_add_u32 v118, v111, 3, 0
	ds_read_b64 v[100:101], v117
	ds_read_b64 v[98:99], v118
	v_cmp_gt_u32_e64 s[0:1], 51, v116
	v_lshl_add_u32 v119, v110, 3, 0
                                        ; implicit-def: $vgpr102_vgpr103
                                        ; implicit-def: $vgpr104_vgpr105
                                        ; implicit-def: $vgpr106_vgpr107
                                        ; implicit-def: $vgpr108_vgpr109
	s_and_saveexec_b64 s[58:59], s[0:1]
	s_cbranch_execz .LBB0_15
; %bb.14:
	ds_read_b64 v[96:97], v117 offset:4216
	ds_read_b64 v[94:95], v117 offset:6528
	;; [unrolled: 1-line block ×5, first 2 shown]
	ds_read_b64 v[52:53], v119
	ds_read_b64 v[102:103], v117 offset:15776
.LBB0_15:
	s_or_b64 exec, exec, s[58:59]
	v_add_f64 v[123:124], v[66:67], v[54:55]
	v_add_f64 v[44:45], v[56:57], -v[44:45]
	v_add_f64 v[40:41], v[64:65], -v[40:41]
	v_add_f64 v[64:65], v[42:43], v[66:67]
	v_add_f64 v[66:67], v[50:51], v[62:63]
	v_add_f64 v[48:49], v[60:61], -v[48:49]
	v_add_f64 v[60:61], v[46:47], v[58:59]
	v_add_f64 v[32:33], v[32:33], -v[36:37]
	v_add_f64 v[56:57], v[62:63], v[123:124]
	v_mul_f64 v[147:148], v[44:45], s[52:53]
	v_mul_f64 v[62:63], v[40:41], s[36:37]
	;; [unrolled: 1-line block ×7, first 2 shown]
	v_add_f64 v[56:57], v[58:59], v[56:57]
	v_mul_f64 v[133:134], v[40:41], s[38:39]
	v_mul_f64 v[40:41], v[40:41], s[42:43]
	v_fma_f64 v[157:158], v[64:65], s[10:11], v[62:63]
	v_fma_f64 v[62:63], v[64:65], s[10:11], -v[62:63]
	v_fma_f64 v[159:160], v[64:65], s[18:19], v[123:124]
	v_fma_f64 v[123:124], v[64:65], s[18:19], -v[123:124]
	v_fma_f64 v[161:162], v[64:65], s[4:5], v[125:126]
	v_add_f64 v[56:57], v[34:35], v[56:57]
	v_fma_f64 v[125:126], v[64:65], s[4:5], -v[125:126]
	v_fma_f64 v[163:164], v[64:65], s[6:7], v[127:128]
	v_fma_f64 v[127:128], v[64:65], s[6:7], -v[127:128]
	v_fma_f64 v[165:166], v[64:65], s[16:17], v[129:130]
	;; [unrolled: 2-line block ×3, first 2 shown]
	v_fma_f64 v[131:132], v[64:65], s[22:23], -v[131:132]
	v_add_f64 v[56:57], v[26:27], v[56:57]
	v_fma_f64 v[169:170], v[64:65], s[34:35], v[133:134]
	v_fma_f64 v[133:134], v[64:65], s[34:35], -v[133:134]
	v_fma_f64 v[171:172], v[64:65], s[40:41], v[40:41]
	v_fma_f64 v[40:41], v[64:65], s[40:41], -v[40:41]
	v_mul_f64 v[58:59], v[48:49], s[48:49]
	v_mul_f64 v[135:136], v[48:49], s[44:45]
	;; [unrolled: 1-line block ×3, first 2 shown]
	v_add_f64 v[56:57], v[18:19], v[56:57]
	v_mul_f64 v[139:140], v[48:49], s[42:43]
	v_add_f64 v[157:158], v[54:55], v[157:158]
	v_add_f64 v[62:63], v[54:55], v[62:63]
	;; [unrolled: 1-line block ×18, first 2 shown]
	v_mul_f64 v[141:142], v[48:49], s[54:55]
	v_mul_f64 v[143:144], v[48:49], s[50:51]
	;; [unrolled: 1-line block ×4, first 2 shown]
	v_add_f64 v[56:57], v[6:7], v[56:57]
	v_mul_f64 v[149:150], v[44:45], s[30:31]
	v_mul_f64 v[151:152], v[44:45], s[56:57]
	;; [unrolled: 1-line block ×3, first 2 shown]
	v_fma_f64 v[64:65], v[66:67], s[18:19], v[58:59]
	v_fma_f64 v[58:59], v[66:67], s[18:19], -v[58:59]
	v_fma_f64 v[173:174], v[66:67], s[6:7], v[135:136]
	v_fma_f64 v[135:136], v[66:67], s[6:7], -v[135:136]
	v_add_f64 v[56:57], v[14:15], v[56:57]
	v_fma_f64 v[175:176], v[66:67], s[22:23], v[137:138]
	v_fma_f64 v[137:138], v[66:67], s[22:23], -v[137:138]
	v_fma_f64 v[179:180], v[66:67], s[40:41], v[139:140]
	v_mul_f64 v[155:156], v[44:45], s[26:27]
	v_fma_f64 v[139:140], v[66:67], s[40:41], -v[139:140]
	v_fma_f64 v[181:182], v[66:67], s[34:35], v[141:142]
	v_fma_f64 v[141:142], v[66:67], s[34:35], -v[141:142]
	v_add_f64 v[56:57], v[22:23], v[56:57]
	v_fma_f64 v[183:184], v[66:67], s[16:17], v[143:144]
	v_fma_f64 v[143:144], v[66:67], s[16:17], -v[143:144]
	v_fma_f64 v[185:186], v[66:67], s[4:5], v[145:146]
	v_fma_f64 v[145:146], v[66:67], s[4:5], -v[145:146]
	;; [unrolled: 2-line block ×3, first 2 shown]
	v_fma_f64 v[66:67], v[60:61], s[4:5], v[147:148]
	v_add_f64 v[56:57], v[30:31], v[56:57]
	v_fma_f64 v[147:148], v[60:61], s[4:5], -v[147:148]
	v_fma_f64 v[189:190], v[60:61], s[22:23], v[149:150]
	v_fma_f64 v[149:150], v[60:61], s[22:23], -v[149:150]
	v_fma_f64 v[191:192], v[60:61], s[40:41], v[151:152]
	;; [unrolled: 2-line block ×3, first 2 shown]
	v_add_f64 v[58:59], v[58:59], v[62:63]
	v_add_f64 v[54:55], v[38:39], v[56:57]
	;; [unrolled: 1-line block ×16, first 2 shown]
	v_mul_f64 v[66:67], v[44:45], s[36:37]
	v_add_f64 v[46:47], v[50:51], v[46:47]
	v_fma_f64 v[123:124], v[60:61], s[18:19], -v[155:156]
	v_add_f64 v[137:138], v[183:184], v[167:168]
	v_add_f64 v[131:132], v[143:144], v[131:132]
	;; [unrolled: 1-line block ×3, first 2 shown]
	v_mul_f64 v[36:37], v[44:45], s[38:39]
	v_add_f64 v[34:35], v[38:39], v[34:35]
	v_mul_f64 v[38:39], v[32:33], s[44:45]
	v_add_f64 v[42:43], v[42:43], v[46:47]
	v_add_f64 v[46:47], v[151:152], v[125:126]
	;; [unrolled: 1-line block ×3, first 2 shown]
	v_mul_f64 v[135:136], v[44:45], s[44:45]
	v_fma_f64 v[44:45], v[60:61], s[10:11], v[66:67]
	v_add_f64 v[123:124], v[123:124], v[129:130]
	v_fma_f64 v[66:67], v[60:61], s[10:11], -v[66:67]
	v_fma_f64 v[153:154], v[60:61], s[16:17], -v[153:154]
	v_fma_f64 v[195:196], v[60:61], s[18:19], v[155:156]
	v_add_f64 v[54:55], v[139:140], v[127:128]
	v_add_f64 v[139:140], v[185:186], v[169:170]
	v_fma_f64 v[129:130], v[60:61], s[6:7], v[135:136]
	v_fma_f64 v[135:136], v[60:61], s[6:7], -v[135:136]
	v_fma_f64 v[141:142], v[60:61], s[34:35], v[36:37]
	v_add_f64 v[44:45], v[44:45], v[137:138]
	v_fma_f64 v[36:37], v[60:61], s[34:35], -v[36:37]
	v_add_f64 v[60:61], v[66:67], v[131:132]
	v_mul_f64 v[66:67], v[32:33], s[42:43]
	v_mul_f64 v[137:138], v[32:33], s[28:29]
	v_add_f64 v[127:128], v[181:182], v[165:166]
	v_add_f64 v[131:132], v[135:136], v[133:134]
	v_fma_f64 v[133:134], v[34:35], s[6:7], v[38:39]
	v_mul_f64 v[135:136], v[32:33], s[50:51]
	v_fma_f64 v[38:39], v[34:35], s[6:7], -v[38:39]
	v_add_f64 v[129:130], v[129:130], v[139:140]
	v_add_f64 v[36:37], v[36:37], v[40:41]
	v_fma_f64 v[40:41], v[34:35], s[40:41], v[66:67]
	v_fma_f64 v[66:67], v[34:35], s[40:41], -v[66:67]
	v_add_f64 v[54:55], v[153:154], v[54:55]
	v_add_f64 v[48:49], v[133:134], v[48:49]
	v_mul_f64 v[133:134], v[32:33], s[52:53]
	v_fma_f64 v[139:140], v[34:35], s[16:17], v[135:136]
	v_fma_f64 v[135:136], v[34:35], s[16:17], -v[135:136]
	v_add_f64 v[38:39], v[38:39], v[56:57]
	v_fma_f64 v[56:57], v[34:35], s[10:11], v[137:138]
	v_add_f64 v[127:128], v[195:196], v[127:128]
	v_add_f64 v[40:41], v[40:41], v[58:59]
	;; [unrolled: 1-line block ×3, first 2 shown]
	v_fma_f64 v[62:63], v[34:35], s[10:11], -v[137:138]
	v_fma_f64 v[66:67], v[34:35], s[4:5], v[133:134]
	v_add_f64 v[46:47], v[135:136], v[46:47]
	v_mul_f64 v[135:136], v[32:33], s[38:39]
	v_fma_f64 v[133:134], v[34:35], s[4:5], -v[133:134]
	v_add_f64 v[56:57], v[56:57], v[125:126]
	v_mul_f64 v[125:126], v[32:33], s[46:47]
	v_add_f64 v[24:25], v[24:25], -v[28:29]
	v_add_f64 v[54:55], v[62:63], v[54:55]
	v_add_f64 v[62:63], v[66:67], v[127:128]
	v_mul_f64 v[28:29], v[32:33], s[26:27]
	v_fma_f64 v[32:33], v[34:35], s[34:35], v[135:136]
	v_add_f64 v[66:67], v[133:134], v[123:124]
	v_fma_f64 v[123:124], v[34:35], s[34:35], -v[135:136]
	v_fma_f64 v[127:128], v[34:35], s[22:23], v[125:126]
	v_fma_f64 v[125:126], v[34:35], s[22:23], -v[125:126]
	v_add_f64 v[26:27], v[30:31], v[26:27]
	v_mul_f64 v[30:31], v[24:25], s[24:25]
	v_fma_f64 v[133:134], v[34:35], s[18:19], v[28:29]
	v_add_f64 v[32:33], v[32:33], v[44:45]
	v_fma_f64 v[28:29], v[34:35], s[18:19], -v[28:29]
	v_add_f64 v[34:35], v[123:124], v[60:61]
	v_mul_f64 v[44:45], v[24:25], s[54:55]
	v_add_f64 v[60:61], v[127:128], v[129:130]
	v_add_f64 v[123:124], v[125:126], v[131:132]
	v_fma_f64 v[125:126], v[26:27], s[16:17], v[30:31]
	v_mul_f64 v[127:128], v[24:25], s[26:27]
	v_fma_f64 v[30:31], v[26:27], s[16:17], -v[30:31]
	v_mul_f64 v[129:130], v[24:25], s[52:53]
	v_add_f64 v[28:29], v[28:29], v[36:37]
	v_fma_f64 v[36:37], v[26:27], s[34:35], v[44:45]
	v_fma_f64 v[44:45], v[26:27], s[34:35], -v[44:45]
	v_add_f64 v[16:17], v[16:17], -v[20:21]
	v_add_f64 v[48:49], v[125:126], v[48:49]
	v_mul_f64 v[125:126], v[24:25], s[42:43]
	v_fma_f64 v[131:132], v[26:27], s[18:19], v[127:128]
	v_fma_f64 v[127:128], v[26:27], s[18:19], -v[127:128]
	v_add_f64 v[30:31], v[30:31], v[38:39]
	v_fma_f64 v[38:39], v[26:27], s[4:5], v[129:130]
	v_add_f64 v[36:37], v[36:37], v[40:41]
	v_add_f64 v[40:41], v[44:45], v[58:59]
	v_fma_f64 v[44:45], v[26:27], s[4:5], -v[129:130]
	v_fma_f64 v[58:59], v[26:27], s[40:41], v[125:126]
	v_fma_f64 v[125:126], v[26:27], s[40:41], -v[125:126]
	v_add_f64 v[46:47], v[127:128], v[46:47]
	v_mul_f64 v[127:128], v[24:25], s[14:15]
	v_add_f64 v[38:39], v[38:39], v[56:57]
	v_mul_f64 v[56:57], v[24:25], s[36:37]
	v_mul_f64 v[20:21], v[24:25], s[30:31]
	v_add_f64 v[44:45], v[44:45], v[54:55]
	v_add_f64 v[54:55], v[58:59], v[62:63]
	;; [unrolled: 1-line block ×4, first 2 shown]
	v_fma_f64 v[24:25], v[26:27], s[6:7], v[127:128]
	v_fma_f64 v[62:63], v[26:27], s[6:7], -v[127:128]
	v_fma_f64 v[66:67], v[26:27], s[10:11], v[56:57]
	v_mul_f64 v[22:23], v[16:17], s[30:31]
	v_fma_f64 v[125:126], v[26:27], s[22:23], v[20:21]
	v_fma_f64 v[20:21], v[26:27], s[22:23], -v[20:21]
	v_fma_f64 v[56:57], v[26:27], s[10:11], -v[56:57]
	v_add_f64 v[8:9], v[8:9], -v[12:13]
	v_add_f64 v[24:25], v[24:25], v[32:33]
	v_add_f64 v[26:27], v[62:63], v[34:35]
	;; [unrolled: 1-line block ×3, first 2 shown]
	v_mul_f64 v[34:35], v[16:17], s[50:51]
	v_fma_f64 v[60:61], v[18:19], s[22:23], v[22:23]
	v_mul_f64 v[62:63], v[16:17], s[36:37]
	v_add_f64 v[20:21], v[20:21], v[28:29]
	v_fma_f64 v[22:23], v[18:19], s[22:23], -v[22:23]
	v_mul_f64 v[28:29], v[16:17], s[38:39]
	v_add_f64 v[56:57], v[56:57], v[123:124]
	v_mul_f64 v[12:13], v[16:17], s[20:21]
	v_fma_f64 v[66:67], v[18:19], s[16:17], v[34:35]
	v_fma_f64 v[34:35], v[18:19], s[16:17], -v[34:35]
	v_add_f64 v[48:49], v[60:61], v[48:49]
	v_mul_f64 v[60:61], v[16:17], s[14:15]
	v_fma_f64 v[123:124], v[18:19], s[10:11], v[62:63]
	v_fma_f64 v[62:63], v[18:19], s[10:11], -v[62:63]
	v_add_f64 v[22:23], v[22:23], v[30:31]
	v_fma_f64 v[30:31], v[18:19], s[34:35], v[28:29]
	v_fma_f64 v[28:29], v[18:19], s[34:35], -v[28:29]
	v_add_f64 v[34:35], v[34:35], v[40:41]
	v_add_f64 v[64:65], v[139:140], v[64:65]
	v_fma_f64 v[40:41], v[18:19], s[6:7], v[60:61]
	v_add_f64 v[10:11], v[14:15], v[10:11]
	v_add_f64 v[46:47], v[62:63], v[46:47]
	v_mul_f64 v[62:63], v[16:17], s[48:49]
	v_add_f64 v[30:31], v[30:31], v[38:39]
	v_fma_f64 v[38:39], v[18:19], s[6:7], -v[60:61]
	v_mul_f64 v[60:61], v[16:17], s[42:43]
	v_add_f64 v[28:29], v[28:29], v[44:45]
	v_add_f64 v[40:41], v[40:41], v[54:55]
	v_mul_f64 v[14:15], v[8:9], s[38:39]
	v_add_f64 v[50:51], v[187:188], v[171:172]
	v_fma_f64 v[16:17], v[18:19], s[18:19], v[62:63]
	v_fma_f64 v[44:45], v[18:19], s[18:19], -v[62:63]
	v_add_f64 v[38:39], v[38:39], v[58:59]
	v_fma_f64 v[54:55], v[18:19], s[40:41], v[60:61]
	v_fma_f64 v[58:59], v[18:19], s[40:41], -v[60:61]
	v_fma_f64 v[60:61], v[18:19], s[4:5], v[12:13]
	v_fma_f64 v[12:13], v[18:19], s[4:5], -v[12:13]
	v_add_f64 v[64:65], v[131:132], v[64:65]
	v_add_f64 v[16:17], v[16:17], v[24:25]
	;; [unrolled: 1-line block ×3, first 2 shown]
	v_mul_f64 v[26:27], v[8:9], s[20:21]
	v_add_f64 v[18:19], v[54:55], v[32:33]
	v_mul_f64 v[54:55], v[8:9], s[44:45]
	v_fma_f64 v[44:45], v[10:11], s[34:35], v[14:15]
	v_fma_f64 v[14:15], v[10:11], s[34:35], -v[14:15]
	v_add_f64 v[12:13], v[12:13], v[20:21]
	v_mul_f64 v[20:21], v[8:9], s[46:47]
	v_add_f64 v[50:51], v[141:142], v[50:51]
	v_add_f64 v[36:37], v[66:67], v[36:37]
	;; [unrolled: 1-line block ×4, first 2 shown]
	v_fma_f64 v[56:57], v[10:11], s[4:5], v[26:27]
	v_fma_f64 v[58:59], v[10:11], s[6:7], v[54:55]
	v_fma_f64 v[26:27], v[10:11], s[4:5], -v[26:27]
	v_add_f64 v[44:45], v[44:45], v[48:49]
	v_mul_f64 v[48:49], v[8:9], s[36:37]
	v_add_f64 v[14:15], v[14:15], v[22:23]
	v_fma_f64 v[22:23], v[10:11], s[6:7], -v[54:55]
	v_fma_f64 v[54:55], v[10:11], s[22:23], v[20:21]
	v_add_f64 v[50:51], v[133:134], v[50:51]
	v_add_f64 v[36:37], v[56:57], v[36:37]
	v_fma_f64 v[20:21], v[10:11], s[22:23], -v[20:21]
	v_add_f64 v[56:57], v[58:59], v[64:65]
	v_mul_f64 v[58:59], v[8:9], s[42:43]
	v_add_f64 v[26:27], v[26:27], v[34:35]
	v_fma_f64 v[34:35], v[10:11], s[10:11], v[48:49]
	v_add_f64 v[22:23], v[22:23], v[46:47]
	v_add_f64 v[46:47], v[54:55], v[30:31]
	v_fma_f64 v[30:31], v[10:11], s[10:11], -v[48:49]
	v_mul_f64 v[48:49], v[8:9], s[26:27]
	v_add_f64 v[0:1], v[0:1], -v[4:5]
	v_add_f64 v[50:51], v[125:126], v[50:51]
	v_add_f64 v[20:21], v[20:21], v[28:29]
	v_fma_f64 v[4:5], v[10:11], s[40:41], v[58:59]
	v_fma_f64 v[28:29], v[10:11], s[40:41], -v[58:59]
	v_mul_f64 v[8:9], v[8:9], s[24:25]
	v_add_f64 v[34:35], v[34:35], v[40:41]
	v_fma_f64 v[40:41], v[10:11], s[18:19], -v[48:49]
	v_add_f64 v[2:3], v[6:7], v[2:3]
	v_mul_f64 v[6:7], v[0:1], s[42:43]
	v_add_f64 v[50:51], v[60:61], v[50:51]
	v_add_f64 v[4:5], v[4:5], v[16:17]
	v_add_f64 v[16:17], v[28:29], v[24:25]
	v_fma_f64 v[24:25], v[10:11], s[16:17], v[8:9]
	v_mul_f64 v[28:29], v[0:1], s[28:29]
	v_add_f64 v[38:39], v[30:31], v[38:39]
	v_fma_f64 v[30:31], v[10:11], s[18:19], v[48:49]
	v_add_f64 v[40:41], v[40:41], v[32:33]
	v_fma_f64 v[8:9], v[10:11], s[16:17], -v[8:9]
	v_fma_f64 v[10:11], v[2:3], s[40:41], v[6:7]
	v_mul_f64 v[32:33], v[0:1], s[38:39]
	v_fma_f64 v[6:7], v[2:3], s[40:41], -v[6:7]
	v_add_f64 v[24:25], v[24:25], v[50:51]
	v_fma_f64 v[48:49], v[2:3], s[10:11], v[28:29]
	v_mul_f64 v[50:51], v[0:1], s[26:27]
	v_fma_f64 v[28:29], v[2:3], s[10:11], -v[28:29]
	v_add_f64 v[18:19], v[30:31], v[18:19]
	v_add_f64 v[8:9], v[8:9], v[12:13]
	;; [unrolled: 1-line block ×4, first 2 shown]
	v_fma_f64 v[6:7], v[2:3], s[34:35], -v[32:33]
	v_fma_f64 v[12:13], v[2:3], s[34:35], v[32:33]
	v_mul_f64 v[44:45], v[0:1], s[30:31]
	v_add_f64 v[32:33], v[28:29], v[26:27]
	v_fma_f64 v[26:27], v[2:3], s[18:19], -v[50:51]
	v_add_f64 v[14:15], v[48:49], v[36:37]
	v_fma_f64 v[36:37], v[2:3], s[18:19], v[50:51]
	v_mul_f64 v[48:49], v[0:1], s[20:21]
	v_add_f64 v[28:29], v[6:7], v[22:23]
	v_mul_f64 v[6:7], v[0:1], s[24:25]
	v_mul_f64 v[0:1], v[0:1], s[14:15]
	v_add_f64 v[12:13], v[12:13], v[56:57]
	v_add_f64 v[20:21], v[26:27], v[20:21]
	v_fma_f64 v[26:27], v[2:3], s[22:23], v[44:45]
	v_add_f64 v[22:23], v[36:37], v[46:47]
	v_fma_f64 v[36:37], v[2:3], s[22:23], -v[44:45]
	v_fma_f64 v[44:45], v[2:3], s[4:5], v[48:49]
	v_fma_f64 v[46:47], v[2:3], s[4:5], -v[48:49]
	v_fma_f64 v[48:49], v[2:3], s[16:17], v[6:7]
	v_fma_f64 v[50:51], v[2:3], s[6:7], v[0:1]
	v_fma_f64 v[0:1], v[2:3], s[6:7], -v[0:1]
	v_fma_f64 v[6:7], v[2:3], s[16:17], -v[6:7]
	v_add_f64 v[2:3], v[26:27], v[34:35]
	v_add_f64 v[26:27], v[36:37], v[38:39]
	;; [unrolled: 1-line block ×8, first 2 shown]
	s_waitcnt lgkmcnt(0)
	s_barrier
	ds_write2_b64 v112, v[42:43], v[10:11] offset1:1
	ds_write2_b64 v112, v[14:15], v[12:13] offset0:2 offset1:3
	ds_write2_b64 v112, v[22:23], v[2:3] offset0:4 offset1:5
	;; [unrolled: 1-line block ×7, first 2 shown]
	ds_write_b64 v112, v[30:31] offset:128
	s_waitcnt lgkmcnt(0)
	s_barrier
	ds_read2_b64 v[20:23], v113 offset0:33 offset1:152
	ds_read2_b64 v[16:19], v114 offset0:66 offset1:185
	;; [unrolled: 1-line block ×6, first 2 shown]
	ds_read_b64 v[26:27], v117
	ds_read_b64 v[24:25], v118
                                        ; implicit-def: $vgpr44_vgpr45
                                        ; implicit-def: $vgpr56_vgpr57
                                        ; implicit-def: $vgpr50_vgpr51
                                        ; implicit-def: $vgpr42_vgpr43
	s_and_saveexec_b64 s[4:5], s[0:1]
	s_cbranch_execz .LBB0_17
; %bb.16:
	ds_read_b64 v[32:33], v117 offset:4216
	ds_read_b64 v[30:31], v117 offset:6528
	ds_read_b64 v[42:43], v117 offset:8840
	ds_read_b64 v[50:51], v117 offset:11152
	ds_read_b64 v[56:57], v117 offset:13464
	ds_read_b64 v[28:29], v119
	ds_read_b64 v[44:45], v117 offset:15776
.LBB0_17:
	s_or_b64 exec, exec, s[4:5]
	s_movk_i32 s4, 0xf1
	v_mul_lo_u16_sdwa v34, v116, s4 dst_sel:DWORD dst_unused:UNUSED_PAD src0_sel:BYTE_0 src1_sel:DWORD
	v_lshrrev_b16_e32 v177, 12, v34
	v_mul_lo_u16_e32 v34, 17, v177
	v_sub_u16_e32 v207, v116, v34
	v_mov_b32_e32 v54, 6
	v_mul_u32_u24_sdwa v34, v207, v54 dst_sel:DWORD dst_unused:UNUSED_PAD src0_sel:BYTE_0 src1_sel:DWORD
	v_lshlrev_b32_e32 v55, 4, v34
	global_load_dwordx4 v[34:37], v55, s[8:9] offset:16
	global_load_dwordx4 v[38:41], v55, s[8:9]
	global_load_dwordx4 v[46:49], v55, s[8:9] offset:48
	global_load_dwordx4 v[58:61], v55, s[8:9] offset:32
	;; [unrolled: 1-line block ×4, first 2 shown]
	v_mul_lo_u16_sdwa v55, v111, s4 dst_sel:DWORD dst_unused:UNUSED_PAD src0_sel:BYTE_0 src1_sel:DWORD
	v_lshrrev_b16_e32 v208, 12, v55
	v_mul_lo_u16_e32 v55, 17, v208
	v_sub_u16_e32 v209, v111, v55
	v_mul_u32_u24_sdwa v54, v209, v54 dst_sel:DWORD dst_unused:UNUSED_PAD src0_sel:BYTE_0 src1_sel:DWORD
	v_lshlrev_b32_e32 v54, 4, v54
	s_mov_b32 s4, 0xf0f1
	global_load_dwordx4 v[129:132], v54, s[8:9] offset:16
	global_load_dwordx4 v[133:136], v54, s[8:9]
	global_load_dwordx4 v[137:140], v54, s[8:9] offset:48
	global_load_dwordx4 v[141:144], v54, s[8:9] offset:32
	;; [unrolled: 1-line block ×4, first 2 shown]
	v_mul_u32_u24_sdwa v54, v110, s4 dst_sel:DWORD dst_unused:UNUSED_PAD src0_sel:WORD_0 src1_sel:DWORD
	v_lshrrev_b32_e32 v120, 20, v54
	v_mul_lo_u16_e32 v54, 17, v120
	v_sub_u16_e32 v210, v110, v54
	v_mul_u32_u24_e32 v54, 6, v210
	v_lshlrev_b32_e32 v54, 4, v54
	global_load_dwordx4 v[153:156], v54, s[8:9]
	global_load_dwordx4 v[157:160], v54, s[8:9] offset:16
	global_load_dwordx4 v[161:164], v54, s[8:9] offset:32
	;; [unrolled: 1-line block ×5, first 2 shown]
	s_mov_b32 s6, 0x37e14327
	s_mov_b32 s4, 0x36b3c0b5
	;; [unrolled: 1-line block ×20, first 2 shown]
	s_waitcnt vmcnt(0) lgkmcnt(0)
	s_barrier
	v_mul_f64 v[64:65], v[16:17], v[36:37]
	v_mul_f64 v[54:55], v[20:21], v[40:41]
	;; [unrolled: 1-line block ×13, first 2 shown]
	v_fma_f64 v[62:63], v[68:69], v[38:39], -v[54:55]
	v_fma_f64 v[64:65], v[72:73], v[34:35], -v[64:65]
	v_mul_f64 v[195:196], v[32:33], v[155:156]
	v_mul_f64 v[155:156], v[96:97], v[155:156]
	v_fma_f64 v[72:73], v[80:81], v[46:47], -v[114:115]
	v_fma_f64 v[80:81], v[84:85], v[125:126], -v[179:180]
	;; [unrolled: 1-line block ×3, first 2 shown]
	v_mul_f64 v[135:136], v[70:71], v[135:136]
	v_mul_f64 v[185:186], v[18:19], v[131:132]
	;; [unrolled: 1-line block ×7, first 2 shown]
	v_fma_f64 v[110:111], v[20:21], v[38:39], v[40:41]
	v_fma_f64 v[112:113], v[16:17], v[34:35], v[36:37]
	v_fma_f64 v[66:67], v[76:77], v[58:59], -v[66:67]
	v_fma_f64 v[68:69], v[12:13], v[58:59], v[60:61]
	v_fma_f64 v[76:77], v[8:9], v[46:47], v[48:49]
	;; [unrolled: 1-line block ×4, first 2 shown]
	v_fma_f64 v[0:1], v[70:71], v[133:134], -v[183:184]
	v_fma_f64 v[38:39], v[32:33], v[153:154], v[155:156]
	v_add_f64 v[32:33], v[62:63], v[88:89]
	v_add_f64 v[70:71], v[64:65], v[80:81]
	v_mul_f64 v[143:144], v[78:79], v[143:144]
	v_mul_f64 v[139:140], v[82:83], v[139:140]
	;; [unrolled: 1-line block ×6, first 2 shown]
	v_fma_f64 v[4:5], v[74:75], v[129:130], -v[185:186]
	v_fma_f64 v[16:17], v[18:19], v[129:130], v[131:132]
	v_fma_f64 v[8:9], v[78:79], v[141:142], -v[187:188]
	v_fma_f64 v[18:19], v[82:83], v[137:138], -v[189:190]
	v_fma_f64 v[48:49], v[30:31], v[157:158], v[159:160]
	v_add_f64 v[30:31], v[112:113], -v[84:85]
	v_add_f64 v[74:75], v[66:67], v[72:73]
	v_add_f64 v[78:79], v[76:77], -v[68:69]
	v_add_f64 v[82:83], v[70:71], v[32:33]
	v_mul_f64 v[151:152], v[86:87], v[151:152]
	v_mul_f64 v[147:148], v[90:91], v[147:148]
	v_fma_f64 v[12:13], v[22:23], v[133:134], v[135:136]
	v_fma_f64 v[20:21], v[86:87], v[149:150], -v[191:192]
	v_fma_f64 v[22:23], v[90:91], v[145:146], -v[193:194]
	v_add_f64 v[86:87], v[110:111], -v[114:115]
	v_fma_f64 v[60:61], v[44:45], v[173:174], v[175:176]
	v_add_f64 v[44:45], v[78:79], v[30:31]
	v_add_f64 v[82:83], v[74:75], v[82:83]
	v_add_f64 v[90:91], v[70:71], -v[32:33]
	v_add_f64 v[32:33], v[32:33], -v[74:75]
	;; [unrolled: 1-line block ×3, first 2 shown]
	v_fma_f64 v[36:37], v[94:95], v[157:158], -v[197:198]
	v_add_f64 v[74:75], v[78:79], -v[30:31]
	v_add_f64 v[78:79], v[86:87], -v[78:79]
	;; [unrolled: 1-line block ×3, first 2 shown]
	v_add_f64 v[44:45], v[44:45], v[86:87]
	v_add_f64 v[86:87], v[100:101], v[82:83]
	v_mul_f64 v[32:33], v[32:33], s[6:7]
	v_mul_f64 v[94:95], v[70:71], s[4:5]
	;; [unrolled: 1-line block ×3, first 2 shown]
	v_fma_f64 v[14:15], v[14:15], v[141:142], v[143:144]
	v_fma_f64 v[10:11], v[10:11], v[137:138], v[139:140]
	;; [unrolled: 1-line block ×3, first 2 shown]
	v_fma_f64 v[34:35], v[96:97], v[153:154], -v[195:196]
	v_mul_f64 v[74:75], v[74:75], s[14:15]
	v_mul_f64 v[96:97], v[30:31], s[10:11]
	v_fma_f64 v[82:83], v[82:83], s[16:17], v[86:87]
	v_fma_f64 v[70:71], v[70:71], s[4:5], v[32:33]
	v_fma_f64 v[94:95], v[90:91], s[18:19], -v[94:95]
	v_fma_f64 v[32:33], v[90:91], s[20:21], -v[32:33]
	v_add_f64 v[90:91], v[0:1], v[22:23]
	v_add_f64 v[100:101], v[4:5], v[20:21]
	v_mul_f64 v[201:202], v[50:51], v[167:168]
	v_fma_f64 v[2:3], v[2:3], v[145:146], v[147:148]
	v_mul_f64 v[199:200], v[42:43], v[163:164]
	v_mul_f64 v[171:172], v[104:105], v[171:172]
	v_fma_f64 v[54:55], v[104:105], v[169:170], -v[203:204]
	v_fma_f64 v[58:59], v[102:103], v[173:174], -v[205:206]
	v_fma_f64 v[102:103], v[78:79], s[22:23], v[74:75]
	v_fma_f64 v[30:31], v[30:31], s[10:11], -v[74:75]
	v_fma_f64 v[74:75], v[78:79], s[24:25], -v[96:97]
	v_add_f64 v[70:71], v[70:71], v[82:83]
	v_add_f64 v[78:79], v[8:9], v[18:19]
	;; [unrolled: 1-line block ×5, first 2 shown]
	v_add_f64 v[82:83], v[16:17], -v[6:7]
	v_add_f64 v[104:105], v[10:11], -v[14:15]
	v_mul_f64 v[167:168], v[106:107], v[167:168]
	v_fma_f64 v[46:47], v[106:107], v[165:166], -v[201:202]
	v_add_f64 v[106:107], v[12:13], -v[2:3]
	v_mul_f64 v[163:164], v[108:109], v[163:164]
	v_fma_f64 v[40:41], v[108:109], v[161:162], -v[199:200]
	v_add_f64 v[96:97], v[78:79], v[96:97]
	v_add_f64 v[108:109], v[90:91], -v[78:79]
	v_add_f64 v[78:79], v[78:79], -v[100:101]
	;; [unrolled: 1-line block ×5, first 2 shown]
	v_add_f64 v[82:83], v[104:105], v[82:83]
	v_add_f64 v[104:105], v[106:107], -v[104:105]
	v_add_f64 v[98:99], v[98:99], v[96:97]
	v_mul_f64 v[100:101], v[108:109], s[6:7]
	v_mul_f64 v[108:109], v[78:79], s[4:5]
	;; [unrolled: 1-line block ×3, first 2 shown]
	v_fma_f64 v[102:103], v[44:45], s[26:27], v[102:103]
	v_mul_f64 v[125:126], v[123:124], s[10:11]
	v_add_f64 v[82:83], v[82:83], v[106:107]
	v_fma_f64 v[30:31], v[44:45], s[26:27], v[30:31]
	v_fma_f64 v[96:97], v[96:97], s[16:17], v[98:99]
	;; [unrolled: 1-line block ×3, first 2 shown]
	v_fma_f64 v[106:107], v[90:91], s[18:19], -v[108:109]
	v_fma_f64 v[90:91], v[90:91], s[20:21], -v[100:101]
	v_fma_f64 v[100:101], v[104:105], s[22:23], v[121:122]
	v_fma_f64 v[104:105], v[104:105], s[24:25], -v[125:126]
	v_fma_f64 v[108:109], v[123:124], s[10:11], -v[121:122]
	v_fma_f64 v[44:45], v[44:45], s[26:27], v[74:75]
	v_add_f64 v[74:75], v[102:103], v[70:71]
	v_add_f64 v[78:79], v[78:79], v[96:97]
	;; [unrolled: 1-line block ×4, first 2 shown]
	v_fma_f64 v[96:97], v[82:83], s[26:27], v[100:101]
	v_fma_f64 v[100:101], v[82:83], s[26:27], v[104:105]
	v_fma_f64 v[82:83], v[82:83], s[26:27], v[108:109]
	v_add_f64 v[104:105], v[44:45], v[32:33]
	v_add_f64 v[108:109], v[94:95], -v[30:31]
	v_fma_f64 v[42:43], v[42:43], v[161:162], v[163:164]
	v_fma_f64 v[50:51], v[50:51], v[165:166], v[167:168]
	v_fma_f64 v[56:57], v[56:57], v[169:170], v[171:172]
	v_add_f64 v[30:31], v[30:31], v[94:95]
	v_add_f64 v[32:33], v[32:33], -v[44:45]
	v_add_f64 v[94:95], v[96:97], v[78:79]
	v_add_f64 v[44:45], v[70:71], -v[102:103]
	;; [unrolled: 2-line block ×4, first 2 shown]
	v_add_f64 v[78:79], v[78:79], -v[96:97]
	v_mov_b32_e32 v96, 3
	v_mul_u32_u24_e32 v70, 0x3b8, v177
	v_lshlrev_b32_sdwa v71, v96, v207 dst_sel:DWORD dst_unused:UNUSED_PAD src0_sel:DWORD src1_sel:BYTE_0
	v_add3_u32 v71, 0, v70, v71
	ds_write2_b64 v71, v[86:87], v[74:75] offset1:17
	ds_write2_b64 v71, v[104:105], v[108:109] offset0:34 offset1:51
	ds_write2_b64 v71, v[30:31], v[32:33] offset0:68 offset1:85
	ds_write_b64 v71, v[44:45] offset:816
	v_mul_u32_u24_e32 v30, 0x3b8, v208
	v_lshlrev_b32_sdwa v31, v96, v209 dst_sel:DWORD dst_unused:UNUSED_PAD src0_sel:DWORD src1_sel:BYTE_0
	v_add3_u32 v74, 0, v30, v31
	v_lshlrev_b32_e32 v70, 3, v210
	ds_write2_b64 v74, v[98:99], v[94:95] offset1:17
	ds_write2_b64 v74, v[102:103], v[121:122] offset0:34 offset1:51
	ds_write2_b64 v74, v[82:83], v[90:91] offset0:68 offset1:85
	ds_write_b64 v74, v[78:79] offset:816
	s_and_saveexec_b64 s[28:29], s[0:1]
	s_cbranch_execz .LBB0_19
; %bb.18:
	v_add_f64 v[30:31], v[36:37], v[54:55]
	v_add_f64 v[32:33], v[34:35], v[58:59]
	v_add_f64 v[44:45], v[50:51], -v[42:43]
	v_add_f64 v[78:79], v[48:49], -v[56:57]
	v_add_f64 v[82:83], v[40:41], v[46:47]
	v_add_f64 v[86:87], v[38:39], -v[60:61]
	v_mul_lo_u16_e32 v75, 0x77, v120
	v_lshlrev_b32_e32 v75, 3, v75
	v_add3_u32 v75, 0, v70, v75
	v_add_f64 v[90:91], v[30:31], v[32:33]
	v_add_f64 v[94:95], v[44:45], -v[78:79]
	v_add_f64 v[96:97], v[32:33], -v[82:83]
	;; [unrolled: 1-line block ×4, first 2 shown]
	v_add_f64 v[78:79], v[44:45], v[78:79]
	v_add_f64 v[44:45], v[86:87], -v[44:45]
	v_add_f64 v[82:83], v[82:83], v[90:91]
	v_add_f64 v[30:31], v[30:31], -v[32:33]
	v_mul_f64 v[32:33], v[94:95], s[14:15]
	v_mul_f64 v[90:91], v[96:97], s[6:7]
	;; [unrolled: 1-line block ×4, first 2 shown]
	v_add_f64 v[78:79], v[78:79], v[86:87]
	v_add_f64 v[52:53], v[52:53], v[82:83]
	v_fma_f64 v[86:87], v[44:45], s[22:23], v[32:33]
	v_fma_f64 v[102:103], v[30:31], s[20:21], -v[90:91]
	v_fma_f64 v[44:45], v[44:45], s[24:25], -v[94:95]
	;; [unrolled: 1-line block ×4, first 2 shown]
	v_fma_f64 v[90:91], v[100:101], s[4:5], v[90:91]
	v_fma_f64 v[82:83], v[82:83], s[16:17], v[52:53]
	;; [unrolled: 1-line block ×5, first 2 shown]
	v_add_f64 v[78:79], v[102:103], v[82:83]
	v_add_f64 v[30:31], v[30:31], v[82:83]
	v_add_f64 v[82:83], v[90:91], v[82:83]
	v_add_f64 v[90:91], v[78:79], -v[44:45]
	v_add_f64 v[94:95], v[30:31], -v[32:33]
	v_add_f64 v[96:97], v[86:87], v[82:83]
	v_add_f64 v[44:45], v[44:45], v[78:79]
	;; [unrolled: 1-line block ×3, first 2 shown]
	v_add_f64 v[32:33], v[82:83], -v[86:87]
	ds_write2_b64 v75, v[52:53], v[96:97] offset1:17
	ds_write2_b64 v75, v[44:45], v[94:95] offset0:34 offset1:51
	ds_write2_b64 v75, v[30:31], v[90:91] offset0:68 offset1:85
	ds_write_b64 v75, v[32:33] offset:816
.LBB0_19:
	s_or_b64 exec, exec, s[28:29]
	v_add_f64 v[30:31], v[110:111], v[114:115]
	v_add_f64 v[32:33], v[112:113], v[84:85]
	v_add_f64 v[44:45], v[62:63], -v[88:89]
	v_add_f64 v[52:53], v[64:65], -v[80:81]
	v_add_f64 v[62:63], v[68:69], v[76:77]
	v_add_f64 v[64:65], v[72:73], -v[66:67]
	v_add_f64 v[2:3], v[12:13], v[2:3]
	v_add_f64 v[6:7], v[16:17], v[6:7]
	v_add_f64 v[4:5], v[4:5], -v[20:21]
	v_add_f64 v[66:67], v[32:33], v[30:31]
	v_add_f64 v[10:11], v[14:15], v[10:11]
	v_add_f64 v[0:1], v[0:1], -v[22:23]
	v_add_f64 v[12:13], v[30:31], -v[62:63]
	;; [unrolled: 1-line block ×6, first 2 shown]
	v_add_f64 v[14:15], v[62:63], v[66:67]
	v_add_f64 v[22:23], v[64:65], v[52:53]
	v_add_f64 v[30:31], v[44:45], -v[64:65]
	v_add_f64 v[32:33], v[52:53], -v[44:45]
	v_mul_f64 v[12:13], v[12:13], s[6:7]
	v_mul_f64 v[20:21], v[20:21], s[14:15]
	v_add_f64 v[62:63], v[6:7], v[2:3]
	v_add_f64 v[64:65], v[2:3], -v[10:11]
	v_add_f64 v[52:53], v[26:27], v[14:15]
	v_mul_f64 v[26:27], v[16:17], s[4:5]
	v_add_f64 v[22:23], v[22:23], v[44:45]
	v_mul_f64 v[44:45], v[32:33], s[10:11]
	v_fma_f64 v[16:17], v[16:17], s[4:5], v[12:13]
	v_fma_f64 v[12:13], v[18:19], s[20:21], -v[12:13]
	v_add_f64 v[66:67], v[10:11], -v[6:7]
	v_add_f64 v[10:11], v[10:11], v[62:63]
	v_fma_f64 v[14:15], v[14:15], s[16:17], v[52:53]
	v_fma_f64 v[26:27], v[18:19], s[18:19], -v[26:27]
	v_fma_f64 v[18:19], v[30:31], s[22:23], v[20:21]
	v_fma_f64 v[20:21], v[32:33], s[10:11], -v[20:21]
	v_add_f64 v[32:33], v[4:5], -v[0:1]
	v_fma_f64 v[30:31], v[30:31], s[24:25], -v[44:45]
	v_add_f64 v[2:3], v[6:7], -v[2:3]
	v_add_f64 v[62:63], v[24:25], v[10:11]
	v_add_f64 v[16:17], v[16:17], v[14:15]
	;; [unrolled: 1-line block ×4, first 2 shown]
	v_fma_f64 v[14:15], v[22:23], s[26:27], v[18:19]
	v_add_f64 v[18:19], v[8:9], -v[4:5]
	v_add_f64 v[4:5], v[8:9], v[4:5]
	v_mul_f64 v[6:7], v[64:65], s[6:7]
	v_mul_f64 v[24:25], v[66:67], s[4:5]
	v_add_f64 v[8:9], v[0:1], -v[8:9]
	v_mul_f64 v[44:45], v[32:33], s[10:11]
	v_fma_f64 v[20:21], v[22:23], s[26:27], v[20:21]
	v_fma_f64 v[22:23], v[22:23], s[26:27], v[30:31]
	v_mul_f64 v[18:19], v[18:19], s[14:15]
	v_add_f64 v[0:1], v[4:5], v[0:1]
	v_fma_f64 v[4:5], v[10:11], s[16:17], v[62:63]
	v_fma_f64 v[10:11], v[66:67], s[4:5], v[6:7]
	v_fma_f64 v[24:25], v[2:3], s[18:19], -v[24:25]
	v_fma_f64 v[2:3], v[2:3], s[20:21], -v[6:7]
	s_waitcnt lgkmcnt(0)
	s_barrier
	v_fma_f64 v[6:7], v[8:9], s[22:23], v[18:19]
	v_fma_f64 v[8:9], v[8:9], s[24:25], -v[44:45]
	v_fma_f64 v[18:19], v[32:33], s[10:11], -v[18:19]
	v_add_f64 v[10:11], v[10:11], v[4:5]
	v_add_f64 v[24:25], v[24:25], v[4:5]
	;; [unrolled: 1-line block ×3, first 2 shown]
	ds_read_b64 v[44:45], v117
	ds_read_b64 v[32:33], v118
	;; [unrolled: 1-line block ×3, first 2 shown]
	v_fma_f64 v[4:5], v[0:1], s[26:27], v[6:7]
	v_fma_f64 v[6:7], v[0:1], s[26:27], v[8:9]
	;; [unrolled: 1-line block ×3, first 2 shown]
	v_add_f64 v[64:65], v[16:17], -v[14:15]
	v_add_f64 v[66:67], v[12:13], -v[22:23]
	v_add_f64 v[75:76], v[22:23], v[12:13]
	v_add_f64 v[77:78], v[14:15], v[16:17]
	;; [unrolled: 1-line block ×3, first 2 shown]
	v_add_f64 v[79:80], v[10:11], -v[4:5]
	v_add_f64 v[81:82], v[2:3], -v[6:7]
	v_add_f64 v[83:84], v[0:1], v[24:25]
	v_add_f64 v[85:86], v[24:25], -v[0:1]
	v_add_u32_e32 v0, 0x800, v117
	v_add_f64 v[87:88], v[6:7], v[2:3]
	v_add_f64 v[89:90], v[4:5], v[10:11]
	ds_read2_b64 v[4:7], v0 offset0:101 offset1:220
	v_add_u32_e32 v0, 0x1000, v117
	ds_read2_b64 v[12:15], v0 offset0:83 offset1:202
	v_add_u32_e32 v0, 0x1800, v117
	v_add_f64 v[72:73], v[26:27], -v[20:21]
	ds_read2_b64 v[20:23], v0 offset0:65 offset1:184
	v_add_u32_e32 v0, 0x2000, v117
	ds_read2_b64 v[24:27], v0 offset0:47 offset1:166
	v_add_u32_e32 v0, 0x2800, v117
	ds_read2_b64 v[16:19], v0 offset0:29 offset1:148
	v_add_u32_e32 v0, 0x3000, v117
	v_add_u32_e32 v8, 0x3400, v117
	ds_read2_b64 v[0:3], v0 offset0:11 offset1:130
	ds_read2_b64 v[8:11], v8 offset0:121 offset1:240
	s_waitcnt lgkmcnt(0)
	s_barrier
	ds_write2_b64 v71, v[52:53], v[64:65] offset1:17
	ds_write2_b64 v71, v[66:67], v[68:69] offset0:34 offset1:51
	ds_write2_b64 v71, v[72:73], v[75:76] offset0:68 offset1:85
	ds_write_b64 v71, v[77:78] offset:816
	ds_write2_b64 v74, v[62:63], v[79:80] offset1:17
	ds_write2_b64 v74, v[81:82], v[83:84] offset0:34 offset1:51
	ds_write2_b64 v74, v[85:86], v[87:88] offset0:68 offset1:85
	ds_write_b64 v74, v[89:90] offset:816
	s_and_saveexec_b64 s[4:5], s[0:1]
	s_cbranch_execz .LBB0_21
; %bb.20:
	v_add_f64 v[38:39], v[38:39], v[60:61]
	v_add_f64 v[48:49], v[48:49], v[56:57]
	;; [unrolled: 1-line block ×3, first 2 shown]
	v_add_f64 v[40:41], v[46:47], -v[40:41]
	v_add_f64 v[36:37], v[36:37], -v[54:55]
	;; [unrolled: 1-line block ×3, first 2 shown]
	s_mov_b32 s6, 0x36b3c0b5
	s_mov_b32 s0, 0x37e14327
	s_mov_b32 s7, 0x3fac98ee
	v_add_f64 v[46:47], v[48:49], v[38:39]
	v_add_f64 v[50:51], v[38:39], -v[42:43]
	s_mov_b32 s1, 0x3fe948f6
	v_add_f64 v[52:53], v[40:41], v[36:37]
	v_add_f64 v[54:55], v[40:41], -v[36:37]
	v_add_f64 v[36:37], v[36:37], -v[34:35]
	s_mov_b32 s10, 0xe976ee23
	v_add_f64 v[38:39], v[48:49], -v[38:39]
	v_add_f64 v[46:47], v[42:43], v[46:47]
	v_add_f64 v[42:43], v[42:43], -v[48:49]
	s_mov_b32 s11, 0xbfe11646
	s_mov_b32 s14, 0x429ad128
	v_mul_f64 v[50:51], v[50:51], s[0:1]
	s_mov_b32 s15, 0x3febfeb5
	v_add_f64 v[40:41], v[34:35], -v[40:41]
	v_add_f64 v[34:35], v[52:53], v[34:35]
	v_add_f64 v[28:29], v[28:29], v[46:47]
	v_mul_f64 v[48:49], v[42:43], s[6:7]
	v_mul_f64 v[52:53], v[54:55], s[10:11]
	;; [unrolled: 1-line block ×3, first 2 shown]
	s_mov_b32 s1, 0x3fe77f67
	s_mov_b32 s0, 0x5476071b
	v_fma_f64 v[42:43], v[42:43], s[6:7], v[50:51]
	v_fma_f64 v[46:47], v[46:47], s[16:17], v[28:29]
	v_fma_f64 v[48:49], v[38:39], s[0:1], -v[48:49]
	s_mov_b32 s1, 0xbfe77f67
	v_fma_f64 v[38:39], v[38:39], s[0:1], -v[50:51]
	s_mov_b32 s1, 0x3fd5d0dc
	s_mov_b32 s0, 0xb247c609
	v_fma_f64 v[50:51], v[40:41], s[0:1], v[52:53]
	s_mov_b32 s1, 0xbfd5d0dc
	v_fma_f64 v[40:41], v[40:41], s[0:1], -v[54:55]
	v_fma_f64 v[36:37], v[36:37], s[14:15], -v[52:53]
	s_mov_b32 s0, 0x37c3f68c
	s_mov_b32 s1, 0x3fdc38aa
	v_add_f64 v[42:43], v[42:43], v[46:47]
	v_add_f64 v[48:49], v[48:49], v[46:47]
	;; [unrolled: 1-line block ×3, first 2 shown]
	v_fma_f64 v[46:47], v[34:35], s[0:1], v[50:51]
	v_fma_f64 v[40:41], v[34:35], s[0:1], v[40:41]
	;; [unrolled: 1-line block ×3, first 2 shown]
	v_add_f64 v[36:37], v[42:43], -v[46:47]
	v_add_f64 v[50:51], v[38:39], -v[40:41]
	v_add_f64 v[52:53], v[34:35], v[48:49]
	v_add_f64 v[34:35], v[48:49], -v[34:35]
	v_add_f64 v[38:39], v[40:41], v[38:39]
	v_add_f64 v[40:41], v[46:47], v[42:43]
	v_mul_lo_u16_e32 v42, 0x77, v120
	v_lshlrev_b32_e32 v42, 3, v42
	v_add3_u32 v42, 0, v70, v42
	ds_write2_b64 v42, v[28:29], v[36:37] offset1:17
	ds_write2_b64 v42, v[50:51], v[52:53] offset0:34 offset1:51
	ds_write2_b64 v42, v[34:35], v[38:39] offset0:68 offset1:85
	ds_write_b64 v42, v[40:41] offset:816
.LBB0_21:
	s_or_b64 exec, exec, s[4:5]
	s_waitcnt lgkmcnt(0)
	s_barrier
	s_and_saveexec_b64 s[0:1], vcc
	s_cbranch_execz .LBB0_23
; %bb.22:
	v_lshlrev_b32_e32 v28, 4, v116
	v_mov_b32_e32 v29, 0
	v_lshlrev_b64 v[28:29], 4, v[28:29]
	v_mov_b32_e32 v34, s9
	v_add_co_u32_e32 v28, vcc, s8, v28
	v_addc_co_u32_e32 v29, vcc, v34, v29, vcc
	global_load_dwordx4 v[34:37], v[28:29], off offset:1744
	global_load_dwordx4 v[38:41], v[28:29], off offset:1760
	;; [unrolled: 1-line block ×16, first 2 shown]
	v_add_u32_e32 v68, 0x1800, v117
	v_add_u32_e32 v72, 0x2000, v117
	v_add_u32_e32 v73, 0x1000, v117
	v_add_u32_e32 v74, 0x2800, v117
	v_add_u32_e32 v75, 0x800, v117
	v_add_u32_e32 v76, 0x3000, v117
	ds_read_b64 v[28:29], v119
	v_add_u32_e32 v77, 0x3400, v117
	ds_read_b64 v[46:47], v117
	ds_read_b64 v[42:43], v118
	ds_read2_b64 v[68:71], v68 offset0:65 offset1:184
	ds_read2_b64 v[86:89], v72 offset0:47 offset1:166
	;; [unrolled: 1-line block ×7, first 2 shown]
	s_mov_b32 s4, 0x7faef3
	s_mov_b32 s5, 0xbfef7484
	s_mov_b32 s10, 0x370991
	s_mov_b32 s28, 0xacd6c6b4
	s_mov_b32 s11, 0x3fedd6d0
	s_mov_b32 s29, 0x3fc7851a
	s_mov_b32 s6, 0x910ea3b9
	s_mov_b32 s20, 0x5d8e7cdc
	s_mov_b32 s7, 0xbfeb34fa
	s_mov_b32 s21, 0xbfd71e95
	s_mov_b32 s16, 0x75d4884
	s_mov_b32 s34, 0x4363dd80
	s_mov_b32 s17, 0x3fe7a5f6
	s_mov_b32 s35, 0x3fe0d888
	s_mov_b32 s8, 0x6ed5f1bb
	s_mov_b32 s22, 0x2a9d6da3
	s_mov_b32 s9, 0xbfe348c8
	s_mov_b32 s23, 0xbfe58eea
	s_mov_b32 s18, 0x2b2883cd
	s_mov_b32 s38, 0x6c9a05f6
	s_mov_b32 s19, 0x3fdc86fa
	s_mov_b32 s39, 0x3fe9895b
	s_mov_b32 s26, 0x7c9e640b
	s_mov_b32 s27, 0xbfeca52d
	s_mov_b32 s37, 0xbfc7851a
	s_mov_b32 s36, s28
	s_mov_b32 s47, 0x3fd71e95
	s_mov_b32 s46, s20
	s_mov_b32 s41, 0xbfe0d888
	s_mov_b32 s40, s34
	s_mov_b32 s53, 0x3fe58eea
	s_mov_b32 s52, s22
	s_mov_b32 s43, 0xbfe9895b
	s_mov_b32 s42, s38
	s_mov_b32 s51, 0x3feca52d
	s_mov_b32 s50, s26
	s_mov_b32 s14, 0xc61f0d01
	s_mov_b32 s44, 0x923c349f
	s_mov_b32 s15, 0xbfd183b1
	s_mov_b32 s45, 0x3feec746
	s_mov_b32 s31, 0xbfeec746
	s_mov_b32 s30, s44
	s_mov_b32 s24, 0xeb564b22
	s_mov_b32 s25, 0xbfefdd0d
	s_mov_b32 s49, 0x3fefdd0d
	s_mov_b32 s48, s24
	s_mov_b32 s0, 0x3259b75e
	s_mov_b32 s1, 0x3fb79ee6
	s_waitcnt vmcnt(15)
	v_mul_f64 v[72:73], v[22:23], v[36:37]
	s_waitcnt vmcnt(14)
	v_mul_f64 v[74:75], v[24:25], v[40:41]
	;; [unrolled: 2-line block ×4, first 2 shown]
	s_waitcnt lgkmcnt(6)
	v_mul_f64 v[50:51], v[68:69], v[50:51]
	s_waitcnt lgkmcnt(5)
	v_mul_f64 v[54:55], v[88:89], v[54:55]
	s_waitcnt vmcnt(11)
	v_mul_f64 v[94:95], v[14:15], v[58:59]
	s_waitcnt vmcnt(9) lgkmcnt(4)
	v_mul_f64 v[138:139], v[112:113], v[66:67]
	v_mul_f64 v[36:37], v[70:71], v[36:37]
	s_waitcnt vmcnt(6)
	v_mul_f64 v[160:161], v[0:1], v[102:103]
	s_waitcnt lgkmcnt(1)
	v_mul_f64 v[102:103], v[148:149], v[102:103]
	v_mul_f64 v[40:41], v[86:87], v[40:41]
	;; [unrolled: 1-line block ×4, first 2 shown]
	s_waitcnt vmcnt(1)
	v_mul_f64 v[168:169], v[32:33], v[124:125]
	s_waitcnt vmcnt(0)
	v_mul_f64 v[170:171], v[10:11], v[146:147]
	v_mul_f64 v[62:63], v[116:117], v[62:63]
	;; [unrolled: 1-line block ×8, first 2 shown]
	v_fma_f64 v[82:83], v[70:71], v[34:35], v[72:73]
	v_fma_f64 v[76:77], v[86:87], v[38:39], v[74:75]
	;; [unrolled: 1-line block ×4, first 2 shown]
	v_fma_f64 v[84:85], v[20:21], v[48:49], -v[50:51]
	v_fma_f64 v[70:71], v[26:27], v[52:53], -v[54:55]
	v_fma_f64 v[90:91], v[114:115], v[56:57], v[94:95]
	v_fma_f64 v[94:95], v[12:13], v[64:65], -v[138:139]
	v_fma_f64 v[54:55], v[0:1], v[100:101], -v[102:103]
	v_fma_f64 v[138:139], v[42:43], v[122:123], v[168:169]
	s_waitcnt lgkmcnt(0)
	v_fma_f64 v[48:49], v[154:155], v[144:145], v[170:171]
	v_mul_f64 v[0:1], v[154:155], v[146:147]
	v_mul_f64 v[158:159], v[6:7], v[98:99]
	;; [unrolled: 1-line block ×5, first 2 shown]
	v_fma_f64 v[88:89], v[14:15], v[56:57], -v[58:59]
	v_fma_f64 v[66:67], v[16:17], v[60:61], -v[62:63]
	v_fma_f64 v[98:99], v[112:113], v[64:65], v[130:131]
	v_fma_f64 v[62:63], v[118:119], v[78:79], v[132:133]
	v_fma_f64 v[112:113], v[6:7], v[96:97], -v[162:163]
	v_fma_f64 v[132:133], v[28:29], v[134:135], v[174:175]
	v_fma_f64 v[58:59], v[152:153], v[140:141], v[176:177]
	v_mul_f64 v[6:7], v[28:29], v[136:137]
	v_mul_f64 v[12:13], v[152:153], v[142:143]
	v_add_f64 v[176:177], v[138:139], v[48:49]
	v_fma_f64 v[136:137], v[32:33], v[122:123], -v[179:180]
	v_fma_f64 v[50:51], v[10:11], v[144:145], -v[0:1]
	v_mul_f64 v[156:157], v[118:119], v[80:81]
	v_fma_f64 v[68:69], v[116:117], v[60:61], v[120:121]
	v_fma_f64 v[116:117], v[128:129], v[96:97], v[158:159]
	;; [unrolled: 1-line block ×4, first 2 shown]
	v_fma_f64 v[128:129], v[4:5], v[104:105], -v[106:107]
	v_mul_f64 v[0:1], v[150:151], v[110:111]
	v_add_f64 v[174:175], v[132:133], v[58:59]
	v_fma_f64 v[134:135], v[30:31], v[134:135], -v[6:7]
	v_fma_f64 v[64:65], v[8:9], v[140:141], -v[12:13]
	v_mul_f64 v[4:5], v[176:177], s[4:5]
	v_add_f64 v[118:119], v[136:137], -v[50:51]
	v_fma_f64 v[60:61], v[18:19], v[78:79], -v[156:157]
	v_fma_f64 v[56:57], v[148:149], v[100:101], v[160:161]
	v_add_f64 v[172:173], v[124:125], v[52:53]
	v_fma_f64 v[78:79], v[2:3], v[108:109], -v[0:1]
	v_mul_f64 v[0:1], v[174:175], s[10:11]
	v_add_f64 v[110:111], v[134:135], -v[64:65]
	v_add_f64 v[168:169], v[98:99], v[62:63]
	v_fma_f64 v[2:3], v[118:119], s[28:29], v[4:5]
	v_add_f64 v[108:109], v[112:113], -v[54:55]
	v_add_f64 v[170:171], v[116:117], v[56:57]
	v_mul_f64 v[6:7], v[172:173], s[6:7]
	v_add_f64 v[114:115], v[128:129], -v[78:79]
	v_add_f64 v[130:131], v[90:91], v[68:69]
	v_fma_f64 v[8:9], v[110:111], s[20:21], v[0:1]
	v_add_f64 v[104:105], v[94:95], -v[60:61]
	v_add_f64 v[2:3], v[46:47], v[2:3]
	v_add_f64 v[102:103], v[88:89], -v[66:67]
	v_mul_f64 v[10:11], v[170:171], s[16:17]
	v_add_f64 v[162:163], v[138:139], -v[48:49]
	v_fma_f64 v[12:13], v[114:115], s[34:35], v[6:7]
	v_add_f64 v[156:157], v[132:133], -v[58:59]
	v_add_f64 v[152:153], v[136:137], v[50:51]
	v_fma_f64 v[80:81], v[22:23], v[34:35], -v[36:37]
	v_add_f64 v[2:3], v[8:9], v[2:3]
	v_mul_f64 v[8:9], v[168:169], s[8:9]
	v_fma_f64 v[14:15], v[108:109], s[22:23], v[10:11]
	v_fma_f64 v[74:75], v[24:25], v[38:39], -v[40:41]
	v_add_f64 v[160:161], v[124:125], -v[52:53]
	v_add_f64 v[154:155], v[134:135], v[64:65]
	v_mul_f64 v[22:23], v[156:157], s[46:47]
	v_fma_f64 v[4:5], v[118:119], s[36:37], v[4:5]
	v_add_f64 v[2:3], v[12:13], v[2:3]
	v_mul_f64 v[12:13], v[130:131], s[18:19]
	v_fma_f64 v[16:17], v[104:105], s[38:39], v[8:9]
	v_add_f64 v[166:167], v[116:117], -v[56:57]
	v_add_f64 v[150:151], v[128:129], v[78:79]
	v_mul_f64 v[26:27], v[160:161], s[40:41]
	v_fma_f64 v[28:29], v[154:155], s[10:11], v[22:23]
	v_fma_f64 v[0:1], v[110:111], s[46:47], v[0:1]
	v_add_f64 v[2:3], v[14:15], v[2:3]
	v_fma_f64 v[18:19], v[102:103], s[26:27], v[12:13]
	v_add_f64 v[4:5], v[46:47], v[4:5]
	v_add_f64 v[164:165], v[98:99], -v[62:63]
	v_add_f64 v[148:149], v[112:113], v[54:55]
	v_mul_f64 v[30:31], v[166:167], s[52:53]
	v_fma_f64 v[32:33], v[150:151], s[6:7], v[26:27]
	v_fma_f64 v[6:7], v[114:115], s[40:41], v[6:7]
	v_add_f64 v[2:3], v[16:17], v[2:3]
	v_add_f64 v[158:159], v[90:91], -v[68:69]
	v_add_f64 v[0:1], v[0:1], v[4:5]
	v_add_f64 v[146:147], v[94:95], v[60:61]
	v_fma_f64 v[22:23], v[154:155], s[10:11], -v[22:23]
	v_fma_f64 v[34:35], v[148:149], s[16:17], v[30:31]
	v_fma_f64 v[10:11], v[108:109], s[52:53], v[10:11]
	v_add_f64 v[126:127], v[86:87], v[72:73]
	v_add_f64 v[2:3], v[18:19], v[2:3]
	v_mul_f64 v[18:19], v[162:163], s[36:37]
	v_add_f64 v[0:1], v[6:7], v[0:1]
	v_add_f64 v[144:145], v[86:87], -v[72:73]
	v_add_f64 v[142:143], v[88:89], v[66:67]
	v_mul_f64 v[4:5], v[158:159], s[50:51]
	v_fma_f64 v[26:27], v[150:151], s[6:7], -v[26:27]
	v_fma_f64 v[8:9], v[104:105], s[42:43], v[8:9]
	v_mul_f64 v[14:15], v[126:127], s[14:15]
	v_fma_f64 v[24:25], v[152:153], s[4:5], v[18:19]
	v_fma_f64 v[18:19], v[152:153], s[4:5], -v[18:19]
	v_add_f64 v[0:1], v[10:11], v[0:1]
	v_add_f64 v[100:101], v[84:85], -v[70:71]
	v_add_f64 v[140:141], v[82:83], -v[76:77]
	v_add_f64 v[122:123], v[84:85], v[70:71]
	v_mul_f64 v[6:7], v[144:145], s[30:31]
	v_fma_f64 v[30:31], v[148:149], s[16:17], -v[30:31]
	v_add_f64 v[24:25], v[44:45], v[24:25]
	v_add_f64 v[18:19], v[44:45], v[18:19]
	v_fma_f64 v[12:13], v[102:103], s[50:51], v[12:13]
	v_add_f64 v[0:1], v[8:9], v[0:1]
	v_fma_f64 v[20:21], v[100:101], s[44:45], v[14:15]
	v_add_f64 v[106:107], v[80:81], v[74:75]
	v_mul_f64 v[10:11], v[140:141], s[48:49]
	v_fma_f64 v[14:15], v[100:101], s[30:31], v[14:15]
	v_add_f64 v[24:25], v[28:29], v[24:25]
	v_mul_f64 v[28:29], v[164:165], s[42:43]
	v_add_f64 v[18:19], v[22:23], v[18:19]
	v_add_f64 v[12:13], v[12:13], v[0:1]
	;; [unrolled: 1-line block ×3, first 2 shown]
	v_mul_f64 v[36:37], v[172:173], s[0:1]
	v_fma_f64 v[20:21], v[106:107], s[0:1], v[10:11]
	v_mul_f64 v[40:41], v[170:171], s[8:9]
	v_add_f64 v[24:25], v[32:33], v[24:25]
	v_fma_f64 v[32:33], v[146:147], s[8:9], v[28:29]
	v_add_f64 v[18:19], v[26:27], v[18:19]
	v_fma_f64 v[26:27], v[122:123], s[14:15], v[6:7]
	v_fma_f64 v[28:29], v[146:147], s[8:9], -v[28:29]
	v_add_f64 v[12:13], v[14:15], v[12:13]
	v_mul_f64 v[14:15], v[176:177], s[6:7]
	v_fma_f64 v[6:7], v[122:123], s[14:15], -v[6:7]
	v_add_f64 v[22:23], v[34:35], v[24:25]
	v_fma_f64 v[24:25], v[142:143], s[18:19], v[4:5]
	v_add_f64 v[18:19], v[30:31], v[18:19]
	v_fma_f64 v[4:5], v[142:143], s[18:19], -v[4:5]
	v_fma_f64 v[183:184], v[114:115], s[48:49], v[36:37]
	v_mul_f64 v[179:180], v[160:161], s[24:25]
	v_add_f64 v[120:121], v[82:83], v[76:77]
	v_mul_f64 v[185:186], v[166:167], s[38:39]
	v_add_f64 v[22:23], v[32:33], v[22:23]
	;; [unrolled: 2-line block ×3, first 2 shown]
	v_mul_f64 v[28:29], v[168:169], s[10:11]
	v_fma_f64 v[36:37], v[114:115], s[24:25], v[36:37]
	v_fma_f64 v[187:188], v[150:151], s[0:1], v[179:180]
	v_mul_f64 v[16:17], v[120:121], s[0:1]
	v_add_f64 v[96:97], v[80:81], -v[74:75]
	v_add_f64 v[22:23], v[24:25], v[22:23]
	v_fma_f64 v[24:25], v[118:119], s[34:35], v[14:15]
	v_add_f64 v[4:5], v[4:5], v[18:19]
	v_fma_f64 v[14:15], v[118:119], s[40:41], v[14:15]
	v_fma_f64 v[181:182], v[154:155], s[18:19], v[32:33]
	v_fma_f64 v[32:33], v[154:155], s[18:19], -v[32:33]
	v_fma_f64 v[18:19], v[106:107], s[0:1], -v[10:11]
	v_mul_f64 v[10:11], v[130:131], s[4:5]
	v_add_f64 v[22:23], v[26:27], v[22:23]
	v_add_f64 v[24:25], v[46:47], v[24:25]
	v_add_f64 v[4:5], v[6:7], v[4:5]
	v_mul_f64 v[6:7], v[162:163], s[40:41]
	v_add_f64 v[14:15], v[46:47], v[14:15]
	v_fma_f64 v[42:43], v[104:105], s[46:47], v[28:29]
	v_fma_f64 v[8:9], v[96:97], s[24:25], v[16:17]
	;; [unrolled: 1-line block ×3, first 2 shown]
	v_add_f64 v[0:1], v[20:21], v[22:23]
	v_mul_f64 v[22:23], v[174:175], s[18:19]
	v_fma_f64 v[28:29], v[104:105], s[20:21], v[28:29]
	v_fma_f64 v[34:35], v[152:153], s[6:7], v[6:7]
	v_fma_f64 v[6:7], v[152:153], s[6:7], -v[6:7]
	v_fma_f64 v[10:11], v[102:103], s[36:37], v[10:11]
	v_add_f64 v[2:3], v[8:9], v[2:3]
	v_fma_f64 v[8:9], v[96:97], s[48:49], v[16:17]
	v_mul_f64 v[16:17], v[126:127], s[16:17]
	v_fma_f64 v[38:39], v[110:111], s[26:27], v[22:23]
	v_fma_f64 v[22:23], v[110:111], s[50:51], v[22:23]
	v_add_f64 v[34:35], v[44:45], v[34:35]
	v_add_f64 v[6:7], v[44:45], v[6:7]
	v_mul_f64 v[20:21], v[120:121], s[14:15]
	v_mul_f64 v[191:192], v[160:161], s[20:21]
	;; [unrolled: 1-line block ×3, first 2 shown]
	v_fma_f64 v[26:27], v[100:101], s[22:23], v[16:17]
	v_add_f64 v[24:25], v[38:39], v[24:25]
	v_fma_f64 v[38:39], v[108:109], s[42:43], v[40:41]
	v_add_f64 v[34:35], v[181:182], v[34:35]
	v_add_f64 v[14:15], v[22:23], v[14:15]
	;; [unrolled: 1-line block ×3, first 2 shown]
	v_mul_f64 v[181:182], v[164:165], s[20:21]
	v_fma_f64 v[40:41], v[108:109], s[38:39], v[40:41]
	v_mul_f64 v[32:33], v[158:159], s[36:37]
	v_add_f64 v[24:25], v[183:184], v[24:25]
	v_fma_f64 v[183:184], v[148:149], s[8:9], v[185:186]
	v_add_f64 v[34:35], v[187:188], v[34:35]
	v_add_f64 v[14:15], v[36:37], v[14:15]
	v_fma_f64 v[36:37], v[148:149], s[8:9], -v[185:186]
	v_fma_f64 v[195:196], v[150:151], s[10:11], v[191:192]
	v_fma_f64 v[16:17], v[100:101], s[52:53], v[16:17]
	v_mul_f64 v[201:202], v[166:167], s[46:47]
	v_add_f64 v[22:23], v[38:39], v[24:25]
	v_fma_f64 v[24:25], v[150:151], s[0:1], -v[179:180]
	v_fma_f64 v[38:39], v[146:147], s[10:11], v[181:182]
	v_add_f64 v[34:35], v[183:184], v[34:35]
	v_add_f64 v[14:15], v[40:41], v[14:15]
	v_mul_f64 v[183:184], v[156:157], s[44:45]
	v_mul_f64 v[205:206], v[164:165], s[26:27]
	v_fma_f64 v[207:208], v[148:149], s[10:11], v[201:202]
	v_add_f64 v[22:23], v[42:43], v[22:23]
	v_add_f64 v[6:7], v[24:25], v[6:7]
	v_mul_f64 v[24:25], v[144:145], s[52:53]
	v_fma_f64 v[42:43], v[142:143], s[4:5], v[32:33]
	v_add_f64 v[34:35], v[38:39], v[34:35]
	v_add_f64 v[14:15], v[28:29], v[14:15]
	v_fma_f64 v[32:33], v[142:143], s[4:5], -v[32:33]
	v_fma_f64 v[28:29], v[96:97], s[44:45], v[20:21]
	v_add_f64 v[22:23], v[30:31], v[22:23]
	v_fma_f64 v[30:31], v[146:147], s[10:11], -v[181:182]
	v_add_f64 v[6:7], v[36:37], v[6:7]
	v_fma_f64 v[38:39], v[122:123], s[16:17], v[24:25]
	v_add_f64 v[34:35], v[42:43], v[34:35]
	v_add_f64 v[14:15], v[10:11], v[14:15]
	;; [unrolled: 1-line block ×3, first 2 shown]
	v_fma_f64 v[12:13], v[122:123], s[16:17], -v[24:25]
	v_mul_f64 v[36:37], v[140:141], s[30:31]
	v_add_f64 v[22:23], v[26:27], v[22:23]
	v_add_f64 v[6:7], v[30:31], v[6:7]
	;; [unrolled: 1-line block ×4, first 2 shown]
	v_mul_f64 v[34:35], v[162:163], s[42:43]
	v_fma_f64 v[18:19], v[96:97], s[30:31], v[20:21]
	v_mul_f64 v[42:43], v[172:173], s[10:11]
	v_fma_f64 v[26:27], v[106:107], s[14:15], v[36:37]
	v_fma_f64 v[20:21], v[106:107], s[14:15], -v[36:37]
	v_add_f64 v[24:25], v[32:33], v[6:7]
	v_mul_f64 v[36:37], v[174:175], s[14:15]
	v_fma_f64 v[193:194], v[154:155], s[14:15], v[183:184]
	v_fma_f64 v[185:186], v[152:153], s[8:9], v[34:35]
	v_fma_f64 v[34:35], v[152:153], s[8:9], -v[34:35]
	v_fma_f64 v[189:190], v[114:115], s[46:47], v[42:43]
	v_add_f64 v[4:5], v[26:27], v[30:31]
	v_mul_f64 v[30:31], v[170:171], s[6:7]
	v_add_f64 v[12:13], v[12:13], v[24:25]
	v_mul_f64 v[24:25], v[176:177], s[8:9]
	v_fma_f64 v[187:188], v[110:111], s[30:31], v[36:37]
	v_add_f64 v[185:186], v[44:45], v[185:186]
	v_fma_f64 v[36:37], v[110:111], s[44:45], v[36:37]
	v_fma_f64 v[183:184], v[154:155], s[14:15], -v[183:184]
	v_add_f64 v[34:35], v[44:45], v[34:35]
	v_add_f64 v[6:7], v[28:29], v[22:23]
	v_mul_f64 v[28:29], v[168:169], s[0:1]
	v_fma_f64 v[40:41], v[118:119], s[38:39], v[24:25]
	v_fma_f64 v[24:25], v[118:119], s[42:43], v[24:25]
	v_add_f64 v[185:186], v[193:194], v[185:186]
	v_fma_f64 v[181:182], v[108:109], s[34:35], v[30:31]
	v_fma_f64 v[42:43], v[114:115], s[20:21], v[42:43]
	v_add_f64 v[34:35], v[183:184], v[34:35]
	v_mul_f64 v[183:184], v[164:165], s[48:49]
	v_mul_f64 v[22:23], v[130:131], s[16:17]
	v_add_f64 v[40:41], v[46:47], v[40:41]
	v_add_f64 v[24:25], v[46:47], v[24:25]
	;; [unrolled: 1-line block ×3, first 2 shown]
	v_fma_f64 v[179:180], v[104:105], s[24:25], v[28:29]
	v_fma_f64 v[30:31], v[108:109], s[40:41], v[30:31]
	v_add_f64 v[14:15], v[16:17], v[14:15]
	v_mul_f64 v[16:17], v[126:127], s[4:5]
	v_fma_f64 v[38:39], v[102:103], s[52:53], v[22:23]
	v_add_f64 v[40:41], v[187:188], v[40:41]
	v_mul_f64 v[187:188], v[166:167], s[40:41]
	v_add_f64 v[24:25], v[36:37], v[24:25]
	v_fma_f64 v[28:29], v[104:105], s[48:49], v[28:29]
	v_mul_f64 v[26:27], v[120:121], s[18:19]
	v_fma_f64 v[22:23], v[102:103], s[22:23], v[22:23]
	v_fma_f64 v[32:33], v[100:101], s[28:29], v[16:17]
	;; [unrolled: 1-line block ×3, first 2 shown]
	v_add_f64 v[36:37], v[189:190], v[40:41]
	v_fma_f64 v[40:41], v[150:151], s[10:11], -v[191:192]
	v_fma_f64 v[189:190], v[148:149], s[6:7], v[187:188]
	v_add_f64 v[24:25], v[42:43], v[24:25]
	v_fma_f64 v[42:43], v[148:149], s[6:7], -v[187:188]
	v_add_f64 v[18:19], v[18:19], v[14:15]
	v_mul_f64 v[193:194], v[160:161], s[52:53]
	v_add_f64 v[138:139], v[46:47], v[138:139]
	v_add_f64 v[36:37], v[181:182], v[36:37]
	;; [unrolled: 1-line block ×3, first 2 shown]
	v_mul_f64 v[40:41], v[158:159], s[22:23]
	v_fma_f64 v[181:182], v[146:147], s[0:1], v[183:184]
	v_add_f64 v[185:186], v[189:190], v[185:186]
	v_add_f64 v[24:25], v[30:31], v[24:25]
	v_mul_f64 v[189:190], v[170:171], s[18:19]
	v_fma_f64 v[199:200], v[150:151], s[16:17], v[193:194]
	v_add_f64 v[30:31], v[179:180], v[36:37]
	v_fma_f64 v[36:37], v[146:147], s[0:1], -v[183:184]
	v_add_f64 v[34:35], v[42:43], v[34:35]
	v_mul_f64 v[42:43], v[144:145], s[36:37]
	v_fma_f64 v[179:180], v[142:143], s[16:17], v[40:41]
	v_add_f64 v[181:182], v[181:182], v[185:186]
	v_add_f64 v[24:25], v[28:29], v[24:25]
	v_mul_f64 v[183:184], v[156:157], s[34:35]
	v_add_f64 v[28:29], v[38:39], v[30:31]
	v_fma_f64 v[30:31], v[142:143], s[16:17], -v[40:41]
	v_add_f64 v[34:35], v[36:37], v[34:35]
	v_mul_f64 v[36:37], v[140:141], s[50:51]
	v_fma_f64 v[38:39], v[122:123], s[4:5], v[42:43]
	v_add_f64 v[40:41], v[179:180], v[181:182]
	v_add_f64 v[22:23], v[22:23], v[24:25]
	v_fma_f64 v[24:25], v[96:97], s[26:27], v[26:27]
	v_fma_f64 v[42:43], v[122:123], s[4:5], -v[42:43]
	v_add_f64 v[28:29], v[32:33], v[28:29]
	v_add_f64 v[30:31], v[30:31], v[34:35]
	v_fma_f64 v[32:33], v[106:107], s[18:19], v[36:37]
	v_fma_f64 v[36:37], v[106:107], s[18:19], -v[36:37]
	v_add_f64 v[34:35], v[38:39], v[40:41]
	v_add_f64 v[22:23], v[16:17], v[22:23]
	;; [unrolled: 1-line block ×3, first 2 shown]
	v_mul_f64 v[179:180], v[172:173], s[16:17]
	v_add_f64 v[14:15], v[24:25], v[28:29]
	v_add_f64 v[30:31], v[42:43], v[30:31]
	v_mul_f64 v[24:25], v[176:177], s[14:15]
	v_fma_f64 v[195:196], v[154:155], s[6:7], v[183:184]
	v_add_f64 v[12:13], v[32:33], v[34:35]
	v_mul_f64 v[34:35], v[162:163], s[30:31]
	v_mul_f64 v[38:39], v[168:169], s[4:5]
	v_fma_f64 v[191:192], v[114:115], s[22:23], v[179:180]
	v_fma_f64 v[179:180], v[114:115], s[52:53], v[179:180]
	v_add_f64 v[20:21], v[36:37], v[30:31]
	v_mul_f64 v[30:31], v[174:175], s[6:7]
	v_fma_f64 v[36:37], v[118:119], s[44:45], v[24:25]
	v_fma_f64 v[24:25], v[118:119], s[30:31], v[24:25]
	;; [unrolled: 1-line block ×3, first 2 shown]
	v_fma_f64 v[34:35], v[152:153], s[14:15], -v[34:35]
	v_fma_f64 v[26:27], v[96:97], s[50:51], v[26:27]
	v_mul_f64 v[28:29], v[130:131], s[0:1]
	v_fma_f64 v[187:188], v[104:105], s[28:29], v[38:39]
	v_fma_f64 v[181:182], v[110:111], s[40:41], v[30:31]
	v_add_f64 v[36:37], v[46:47], v[36:37]
	v_fma_f64 v[30:31], v[110:111], s[34:35], v[30:31]
	v_add_f64 v[185:186], v[44:45], v[185:186]
	v_add_f64 v[24:25], v[46:47], v[24:25]
	;; [unrolled: 1-line block ×4, first 2 shown]
	v_mul_f64 v[26:27], v[126:127], s[10:11]
	v_fma_f64 v[42:43], v[102:103], s[24:25], v[28:29]
	v_add_f64 v[36:37], v[181:182], v[36:37]
	v_fma_f64 v[181:182], v[108:109], s[50:51], v[189:190]
	v_add_f64 v[185:186], v[195:196], v[185:186]
	v_add_f64 v[24:25], v[30:31], v[24:25]
	v_fma_f64 v[30:31], v[154:155], s[6:7], -v[183:184]
	v_mul_f64 v[183:184], v[164:165], s[36:37]
	v_fma_f64 v[38:39], v[104:105], s[36:37], v[38:39]
	v_fma_f64 v[40:41], v[100:101], s[46:47], v[26:27]
	v_add_f64 v[36:37], v[191:192], v[36:37]
	v_fma_f64 v[191:192], v[148:149], s[18:19], v[197:198]
	v_add_f64 v[185:186], v[199:200], v[185:186]
	v_add_f64 v[24:25], v[179:180], v[24:25]
	v_fma_f64 v[179:180], v[150:151], s[16:17], -v[193:194]
	v_add_f64 v[30:31], v[30:31], v[34:35]
	v_mul_f64 v[34:35], v[158:159], s[48:49]
	v_fma_f64 v[28:29], v[102:103], s[48:49], v[28:29]
	v_add_f64 v[36:37], v[181:182], v[36:37]
	v_fma_f64 v[181:182], v[108:109], s[26:27], v[189:190]
	v_fma_f64 v[189:190], v[146:147], s[4:5], v[183:184]
	v_add_f64 v[185:186], v[191:192], v[185:186]
	v_mul_f64 v[32:33], v[120:121], s[8:9]
	v_add_f64 v[30:31], v[179:180], v[30:31]
	v_mul_f64 v[179:180], v[144:145], s[20:21]
	v_fma_f64 v[26:27], v[100:101], s[20:21], v[26:27]
	v_add_f64 v[36:37], v[187:188], v[36:37]
	v_add_f64 v[24:25], v[181:182], v[24:25]
	v_fma_f64 v[181:182], v[148:149], s[18:19], -v[197:198]
	v_fma_f64 v[187:188], v[142:143], s[0:1], v[34:35]
	v_add_f64 v[185:186], v[189:190], v[185:186]
	v_mul_f64 v[189:190], v[170:171], s[10:11]
	v_mul_f64 v[193:194], v[160:161], s[44:45]
	;; [unrolled: 1-line block ×3, first 2 shown]
	v_add_f64 v[36:37], v[42:43], v[36:37]
	v_add_f64 v[24:25], v[38:39], v[24:25]
	v_fma_f64 v[38:39], v[146:147], s[4:5], -v[183:184]
	v_add_f64 v[30:31], v[181:182], v[30:31]
	v_mul_f64 v[42:43], v[140:141], s[42:43]
	v_fma_f64 v[181:182], v[122:123], s[10:11], v[179:180]
	v_add_f64 v[183:184], v[187:188], v[185:186]
	v_fma_f64 v[185:186], v[96:97], s[38:39], v[32:33]
	v_fma_f64 v[32:33], v[96:97], s[42:43], v[32:33]
	v_add_f64 v[24:25], v[28:29], v[24:25]
	v_fma_f64 v[28:29], v[142:143], s[0:1], -v[34:35]
	v_add_f64 v[30:31], v[38:39], v[30:31]
	v_add_f64 v[34:35], v[40:41], v[36:37]
	v_fma_f64 v[36:37], v[106:107], s[8:9], v[42:43]
	v_add_f64 v[38:39], v[181:182], v[183:184]
	v_mul_f64 v[40:41], v[176:177], s[0:1]
	v_fma_f64 v[179:180], v[122:123], s[10:11], -v[179:180]
	v_add_f64 v[181:182], v[26:27], v[24:25]
	v_fma_f64 v[199:200], v[108:109], s[20:21], v[189:190]
	v_add_f64 v[28:29], v[28:29], v[30:31]
	v_mul_f64 v[30:31], v[174:175], s[4:5]
	v_add_f64 v[26:27], v[185:186], v[34:35]
	v_add_f64 v[24:25], v[36:37], v[38:39]
	v_mul_f64 v[36:37], v[162:163], s[24:25]
	v_fma_f64 v[38:39], v[118:119], s[48:49], v[40:41]
	v_add_f64 v[34:35], v[32:33], v[181:182]
	v_fma_f64 v[32:33], v[106:107], s[8:9], -v[42:43]
	v_add_f64 v[28:29], v[179:180], v[28:29]
	v_mul_f64 v[42:43], v[172:173], s[14:15]
	v_fma_f64 v[179:180], v[110:111], s[28:29], v[30:31]
	v_mul_f64 v[181:182], v[156:157], s[36:37]
	v_fma_f64 v[183:184], v[152:153], s[0:1], v[36:37]
	v_add_f64 v[38:39], v[46:47], v[38:39]
	v_fma_f64 v[40:41], v[118:119], s[24:25], v[40:41]
	v_fma_f64 v[203:204], v[150:151], s[14:15], v[193:194]
	;; [unrolled: 1-line block ×4, first 2 shown]
	v_fma_f64 v[36:37], v[152:153], s[0:1], -v[36:37]
	v_fma_f64 v[195:196], v[154:155], s[4:5], v[181:182]
	v_add_f64 v[183:184], v[44:45], v[183:184]
	v_add_f64 v[38:39], v[179:180], v[38:39]
	;; [unrolled: 1-line block ×3, first 2 shown]
	v_fma_f64 v[42:43], v[114:115], s[44:45], v[42:43]
	v_mul_f64 v[185:186], v[126:127], s[8:9]
	v_fma_f64 v[181:182], v[154:155], s[4:5], -v[181:182]
	v_add_f64 v[36:37], v[44:45], v[36:37]
	v_fma_f64 v[189:190], v[108:109], s[46:47], v[189:190]
	v_add_f64 v[183:184], v[195:196], v[183:184]
	v_add_f64 v[38:39], v[191:192], v[38:39]
	v_mul_f64 v[191:192], v[130:131], s[6:7]
	v_fma_f64 v[195:196], v[104:105], s[50:51], v[197:198]
	v_add_f64 v[30:31], v[30:31], v[40:41]
	v_mul_f64 v[40:41], v[158:159], s[40:41]
	v_mul_f64 v[187:188], v[120:121], s[16:17]
	v_fma_f64 v[179:180], v[100:101], s[42:43], v[185:186]
	v_add_f64 v[183:184], v[203:204], v[183:184]
	v_add_f64 v[38:39], v[199:200], v[38:39]
	v_fma_f64 v[199:200], v[102:103], s[34:35], v[191:192]
	v_fma_f64 v[203:204], v[146:147], s[18:19], v[205:206]
	v_add_f64 v[30:31], v[42:43], v[30:31]
	v_mul_f64 v[42:43], v[144:145], s[38:39]
	v_fma_f64 v[193:194], v[150:151], s[14:15], -v[193:194]
	v_add_f64 v[36:37], v[181:182], v[36:37]
	v_add_f64 v[183:184], v[207:208], v[183:184]
	;; [unrolled: 1-line block ×3, first 2 shown]
	v_fma_f64 v[195:196], v[142:143], s[6:7], v[40:41]
	v_fma_f64 v[181:182], v[104:105], s[26:27], v[197:198]
	v_add_f64 v[30:31], v[189:190], v[30:31]
	v_mul_f64 v[189:190], v[140:141], s[52:53]
	v_fma_f64 v[197:198], v[122:123], s[8:9], v[42:43]
	v_add_f64 v[36:37], v[193:194], v[36:37]
	v_add_f64 v[183:184], v[203:204], v[183:184]
	;; [unrolled: 1-line block ×3, first 2 shown]
	v_fma_f64 v[199:200], v[148:149], s[10:11], -v[201:202]
	v_fma_f64 v[191:192], v[102:103], s[40:41], v[191:192]
	v_add_f64 v[30:31], v[181:182], v[30:31]
	v_fma_f64 v[185:186], v[100:101], s[38:39], v[185:186]
	v_add_f64 v[32:33], v[32:33], v[28:29]
	v_fma_f64 v[40:41], v[142:143], s[6:7], -v[40:41]
	v_add_f64 v[183:184], v[195:196], v[183:184]
	v_fma_f64 v[195:196], v[96:97], s[22:23], v[187:188]
	v_add_f64 v[38:39], v[179:180], v[38:39]
	v_fma_f64 v[179:180], v[106:107], s[16:17], v[189:190]
	v_add_f64 v[36:37], v[199:200], v[36:37]
	v_add_f64 v[191:192], v[191:192], v[30:31]
	v_mul_f64 v[201:202], v[170:171], s[14:15]
	v_fma_f64 v[42:43], v[122:123], s[8:9], -v[42:43]
	v_add_f64 v[181:182], v[197:198], v[183:184]
	v_fma_f64 v[183:184], v[146:147], s[18:19], -v[205:206]
	v_add_f64 v[30:31], v[195:196], v[38:39]
	v_mul_f64 v[38:39], v[176:177], s[18:19]
	v_mul_f64 v[197:198], v[160:161], s[28:29]
	v_add_f64 v[136:137], v[44:45], v[136:137]
	v_add_f64 v[132:133], v[132:133], v[138:139]
	;; [unrolled: 1-line block ×3, first 2 shown]
	v_mul_f64 v[179:180], v[162:163], s[26:27]
	v_add_f64 v[36:37], v[183:184], v[36:37]
	v_fma_f64 v[181:182], v[96:97], s[52:53], v[187:188]
	v_add_f64 v[183:184], v[185:186], v[191:192]
	v_mul_f64 v[185:186], v[174:175], s[8:9]
	v_fma_f64 v[187:188], v[118:119], s[50:51], v[38:39]
	v_mul_f64 v[191:192], v[156:157], s[42:43]
	v_fma_f64 v[38:39], v[118:119], s[26:27], v[38:39]
	v_fma_f64 v[193:194], v[152:153], s[18:19], v[179:180]
	v_add_f64 v[36:37], v[40:41], v[36:37]
	v_mul_f64 v[40:41], v[172:173], s[4:5]
	v_fma_f64 v[205:206], v[150:151], s[4:5], v[197:198]
	v_fma_f64 v[195:196], v[110:111], s[38:39], v[185:186]
	v_add_f64 v[187:188], v[46:47], v[187:188]
	v_fma_f64 v[199:200], v[154:155], s[8:9], v[191:192]
	v_fma_f64 v[185:186], v[110:111], s[42:43], v[185:186]
	v_add_f64 v[193:194], v[44:45], v[193:194]
	v_add_f64 v[38:39], v[46:47], v[38:39]
	v_fma_f64 v[203:204], v[114:115], s[36:37], v[40:41]
	v_fma_f64 v[40:41], v[114:115], s[28:29], v[40:41]
	v_add_f64 v[36:37], v[42:43], v[36:37]
	v_add_f64 v[187:188], v[195:196], v[187:188]
	v_mul_f64 v[195:196], v[166:167], s[44:45]
	v_add_f64 v[42:43], v[181:182], v[183:184]
	v_add_f64 v[193:194], v[199:200], v[193:194]
	;; [unrolled: 1-line block ×3, first 2 shown]
	v_mul_f64 v[185:186], v[168:169], s[16:17]
	v_fma_f64 v[199:200], v[108:109], s[30:31], v[201:202]
	v_fma_f64 v[201:202], v[108:109], s[44:45], v[201:202]
	v_add_f64 v[187:188], v[203:204], v[187:188]
	v_mul_f64 v[203:204], v[164:165], s[52:53]
	v_fma_f64 v[207:208], v[148:149], s[14:15], v[195:196]
	v_add_f64 v[193:194], v[205:206], v[193:194]
	v_add_f64 v[38:39], v[40:41], v[38:39]
	v_mul_f64 v[40:41], v[130:131], s[10:11]
	v_fma_f64 v[205:206], v[104:105], s[22:23], v[185:186]
	v_fma_f64 v[185:186], v[104:105], s[52:53], v[185:186]
	v_add_f64 v[187:188], v[199:200], v[187:188]
	v_mul_f64 v[199:200], v[158:159], s[20:21]
	v_fma_f64 v[209:210], v[146:147], s[16:17], v[203:204]
	v_add_f64 v[193:194], v[207:208], v[193:194]
	v_add_f64 v[38:39], v[201:202], v[38:39]
	;; [unrolled: 8-line block ×4, first 2 shown]
	v_fma_f64 v[40:41], v[106:107], s[16:17], -v[189:190]
	v_fma_f64 v[189:190], v[96:97], s[34:35], v[185:186]
	v_fma_f64 v[185:186], v[96:97], s[40:41], v[185:186]
	v_add_f64 v[187:188], v[209:210], v[187:188]
	v_fma_f64 v[209:210], v[106:107], s[6:7], v[207:208]
	v_mul_f64 v[183:184], v[176:177], s[16:17]
	v_add_f64 v[193:194], v[213:214], v[193:194]
	v_add_f64 v[201:202], v[201:202], v[38:39]
	;; [unrolled: 1-line block ×3, first 2 shown]
	v_fma_f64 v[179:180], v[152:153], s[18:19], -v[179:180]
	v_fma_f64 v[191:192], v[154:155], s[8:9], -v[191:192]
	v_add_f64 v[38:39], v[189:190], v[187:188]
	v_mul_f64 v[187:188], v[162:163], s[22:23]
	v_fma_f64 v[189:190], v[118:119], s[52:53], v[183:184]
	v_add_f64 v[36:37], v[209:210], v[193:194]
	v_add_f64 v[181:182], v[185:186], v[201:202]
	v_mul_f64 v[185:186], v[174:175], s[0:1]
	v_mul_f64 v[193:194], v[156:157], s[24:25]
	v_add_f64 v[179:180], v[44:45], v[179:180]
	v_mul_f64 v[209:210], v[172:173], s[8:9]
	v_fma_f64 v[201:202], v[152:153], s[16:17], v[187:188]
	v_add_f64 v[189:190], v[46:47], v[189:190]
	v_mul_f64 v[213:214], v[160:161], s[42:43]
	v_fma_f64 v[197:198], v[150:151], s[4:5], -v[197:198]
	v_fma_f64 v[211:212], v[110:111], s[48:49], v[185:186]
	v_fma_f64 v[215:216], v[154:155], s[0:1], v[193:194]
	v_add_f64 v[179:180], v[191:192], v[179:180]
	v_fma_f64 v[191:192], v[148:149], s[14:15], -v[195:196]
	v_add_f64 v[201:202], v[44:45], v[201:202]
	v_mul_f64 v[195:196], v[170:171], s[4:5]
	v_fma_f64 v[217:218], v[114:115], s[38:39], v[209:210]
	v_fma_f64 v[219:220], v[150:151], s[8:9], v[213:214]
	v_add_f64 v[189:190], v[211:212], v[189:190]
	v_mul_f64 v[211:212], v[166:167], s[36:37]
	v_add_f64 v[179:180], v[197:198], v[179:180]
	v_fma_f64 v[197:198], v[146:147], s[16:17], -v[203:204]
	v_add_f64 v[201:202], v[215:216], v[201:202]
	v_mul_f64 v[203:204], v[168:169], s[6:7]
	v_fma_f64 v[215:216], v[108:109], s[28:29], v[195:196]
	v_mul_f64 v[176:177], v[176:177], s[10:11]
	v_add_f64 v[189:190], v[217:218], v[189:190]
	v_mul_f64 v[217:218], v[164:165], s[34:35]
	v_fma_f64 v[221:222], v[148:149], s[4:5], v[211:212]
	v_fma_f64 v[183:184], v[118:119], s[22:23], v[183:184]
	v_add_f64 v[201:202], v[219:220], v[201:202]
	v_fma_f64 v[219:220], v[104:105], s[40:41], v[203:204]
	v_fma_f64 v[187:188], v[152:153], s[16:17], -v[187:188]
	v_mul_f64 v[174:175], v[174:175], s[16:17]
	v_add_f64 v[189:190], v[215:216], v[189:190]
	v_mul_f64 v[215:216], v[158:159], s[44:45]
	v_fma_f64 v[223:224], v[146:147], s[6:7], v[217:218]
	v_add_f64 v[179:180], v[191:192], v[179:180]
	v_add_f64 v[201:202], v[221:222], v[201:202]
	v_fma_f64 v[191:192], v[142:143], s[10:11], -v[199:200]
	v_mul_f64 v[199:200], v[130:131], s[14:15]
	v_fma_f64 v[185:186], v[110:111], s[24:25], v[185:186]
	v_add_f64 v[189:190], v[219:220], v[189:190]
	v_mul_f64 v[219:220], v[144:145], s[50:51]
	v_fma_f64 v[225:226], v[142:143], s[14:15], v[215:216]
	v_add_f64 v[183:184], v[46:47], v[183:184]
	v_add_f64 v[201:202], v[223:224], v[201:202]
	v_fma_f64 v[193:194], v[154:155], s[0:1], -v[193:194]
	v_add_f64 v[187:188], v[44:45], v[187:188]
	v_mul_f64 v[172:173], v[172:173], s[18:19]
	v_fma_f64 v[221:222], v[102:103], s[30:31], v[199:200]
	v_fma_f64 v[227:228], v[122:123], s[18:19], v[219:220]
	v_fma_f64 v[209:210], v[114:115], s[42:43], v[209:210]
	v_add_f64 v[183:184], v[185:186], v[183:184]
	v_add_f64 v[201:202], v[225:226], v[201:202]
	v_fma_f64 v[225:226], v[118:119], s[46:47], v[176:177]
	v_fma_f64 v[185:186], v[102:103], s[44:45], v[199:200]
	v_fma_f64 v[199:200], v[150:151], s[8:9], -v[213:214]
	v_add_f64 v[187:188], v[193:194], v[187:188]
	v_fma_f64 v[193:194], v[108:109], s[36:37], v[195:196]
	v_mul_f64 v[170:171], v[170:171], s[0:1]
	v_fma_f64 v[195:196], v[114:115], s[50:51], v[172:173]
	v_add_f64 v[201:202], v[227:228], v[201:202]
	v_fma_f64 v[227:228], v[110:111], s[52:53], v[174:175]
	v_add_f64 v[225:226], v[46:47], v[225:226]
	v_add_f64 v[134:135], v[134:135], v[136:137]
	v_add_f64 v[183:184], v[209:210], v[183:184]
	v_fma_f64 v[209:210], v[148:149], s[4:5], -v[211:212]
	v_add_f64 v[187:188], v[199:200], v[187:188]
	v_mul_f64 v[168:169], v[168:169], s[14:15]
	v_fma_f64 v[199:200], v[108:109], s[48:49], v[170:171]
	v_add_f64 v[124:125], v[124:125], v[132:133]
	v_add_f64 v[213:214], v[227:228], v[225:226]
	;; [unrolled: 1-line block ×4, first 2 shown]
	v_fma_f64 v[193:194], v[146:147], s[6:7], -v[217:218]
	v_add_f64 v[187:188], v[209:210], v[187:188]
	v_mul_f64 v[209:210], v[130:131], s[8:9]
	v_fma_f64 v[130:131], v[104:105], s[44:45], v[168:169]
	v_add_f64 v[116:117], v[116:117], v[124:125]
	v_add_f64 v[195:196], v[195:196], v[213:214]
	;; [unrolled: 1-line block ×4, first 2 shown]
	v_fma_f64 v[197:198], v[122:123], s[0:1], -v[205:206]
	v_mul_f64 v[205:206], v[126:127], s[18:19]
	v_fma_f64 v[136:137], v[142:143], s[14:15], -v[215:216]
	v_add_f64 v[187:188], v[193:194], v[187:188]
	v_mul_f64 v[193:194], v[126:127], s[6:7]
	v_add_f64 v[138:139], v[199:200], v[195:196]
	v_fma_f64 v[126:127], v[102:103], s[38:39], v[209:210]
	v_add_f64 v[98:99], v[98:99], v[116:117]
	v_add_f64 v[94:95], v[94:95], v[112:113]
	;; [unrolled: 1-line block ×3, first 2 shown]
	v_mul_f64 v[191:192], v[120:121], s[10:11]
	v_fma_f64 v[134:135], v[122:123], s[18:19], -v[219:220]
	v_add_f64 v[136:137], v[136:137], v[187:188]
	v_add_f64 v[130:131], v[130:131], v[138:139]
	v_mul_f64 v[120:121], v[120:121], s[4:5]
	v_fma_f64 v[138:139], v[100:101], s[34:35], v[193:194]
	v_add_f64 v[98:99], v[90:91], v[98:99]
	v_add_f64 v[88:89], v[88:89], v[94:95]
	v_fma_f64 v[203:204], v[104:105], s[34:35], v[203:204]
	v_mul_f64 v[112:113], v[162:163], s[20:21]
	v_add_f64 v[134:135], v[134:135], v[136:137]
	v_add_f64 v[124:125], v[126:127], v[130:131]
	v_fma_f64 v[136:137], v[96:97], s[28:29], v[120:121]
	v_fma_f64 v[223:224], v[100:101], s[26:27], v[205:206]
	v_add_f64 v[86:87], v[86:87], v[98:99]
	v_add_f64 v[84:85], v[84:85], v[88:89]
	;; [unrolled: 1-line block ×3, first 2 shown]
	v_mul_f64 v[98:99], v[156:157], s[22:23]
	v_add_f64 v[189:190], v[221:222], v[189:190]
	v_add_f64 v[116:117], v[138:139], v[124:125]
	v_mul_f64 v[221:222], v[140:141], s[46:47]
	v_fma_f64 v[205:206], v[100:101], s[50:51], v[205:206]
	v_add_f64 v[82:83], v[82:83], v[86:87]
	v_add_f64 v[80:81], v[80:81], v[84:85]
	v_add_f64 v[132:133], v[185:186], v[183:184]
	v_mul_f64 v[138:139], v[160:161], s[26:27]
	v_fma_f64 v[86:87], v[154:155], s[16:17], v[98:99]
	v_add_f64 v[90:91], v[136:137], v[116:117]
	v_fma_f64 v[136:137], v[152:153], s[10:11], v[112:113]
	v_fma_f64 v[118:119], v[118:119], s[20:21], v[176:177]
	v_fma_f64 v[112:113], v[152:153], s[10:11], -v[112:113]
	v_add_f64 v[76:77], v[76:77], v[82:83]
	v_add_f64 v[74:75], v[74:75], v[80:81]
	v_fma_f64 v[130:131], v[96:97], s[46:47], v[191:192]
	v_add_f64 v[128:129], v[205:206], v[132:133]
	v_fma_f64 v[132:133], v[106:107], s[10:11], -v[221:222]
	v_add_f64 v[136:137], v[44:45], v[136:137]
	v_mul_f64 v[88:89], v[166:167], s[24:25]
	v_fma_f64 v[82:83], v[150:151], s[18:19], v[138:139]
	v_fma_f64 v[84:85], v[110:111], s[22:23], v[174:175]
	v_add_f64 v[46:47], v[46:47], v[118:119]
	v_fma_f64 v[98:99], v[154:155], s[16:17], -v[98:99]
	v_add_f64 v[44:45], v[44:45], v[112:113]
	v_add_f64 v[72:73], v[72:73], v[76:77]
	;; [unrolled: 1-line block ×6, first 2 shown]
	v_mul_f64 v[134:135], v[164:165], s[30:31]
	v_fma_f64 v[76:77], v[148:149], s[0:1], v[88:89]
	v_fma_f64 v[80:81], v[114:115], s[26:27], v[172:173]
	v_add_f64 v[46:47], v[84:85], v[46:47]
	v_add_f64 v[82:83], v[82:83], v[86:87]
	v_fma_f64 v[84:85], v[150:151], s[18:19], -v[138:139]
	v_add_f64 v[44:45], v[98:99], v[44:45]
	v_add_f64 v[68:69], v[68:69], v[72:73]
	;; [unrolled: 1-line block ×3, first 2 shown]
	v_mul_f64 v[132:133], v[158:159], s[42:43]
	v_fma_f64 v[72:73], v[146:147], s[14:15], v[134:135]
	v_fma_f64 v[74:75], v[108:109], s[24:25], v[170:171]
	v_add_f64 v[76:77], v[76:77], v[82:83]
	v_add_f64 v[46:47], v[80:81], v[46:47]
	v_fma_f64 v[80:81], v[148:149], s[0:1], -v[88:89]
	v_add_f64 v[44:45], v[84:85], v[44:45]
	v_add_f64 v[62:63], v[62:63], v[68:69]
	;; [unrolled: 1-line block ×3, first 2 shown]
	v_mul_f64 v[116:117], v[144:145], s[40:41]
	v_fma_f64 v[68:69], v[142:143], s[8:9], v[132:133]
	v_add_f64 v[72:73], v[72:73], v[76:77]
	v_fma_f64 v[70:71], v[104:105], s[30:31], v[168:169]
	v_add_f64 v[46:47], v[74:75], v[46:47]
	v_fma_f64 v[74:75], v[146:147], s[14:15], -v[134:135]
	v_add_f64 v[44:45], v[80:81], v[44:45]
	v_add_f64 v[56:57], v[56:57], v[62:63]
	;; [unrolled: 1-line block ×3, first 2 shown]
	v_mul_f64 v[94:95], v[140:141], s[36:37]
	v_fma_f64 v[62:63], v[122:123], s[6:7], v[116:117]
	v_add_f64 v[68:69], v[68:69], v[72:73]
	v_fma_f64 v[66:67], v[102:103], s[42:43], v[209:210]
	v_add_f64 v[46:47], v[70:71], v[46:47]
	v_fma_f64 v[70:71], v[142:143], s[8:9], -v[132:133]
	v_add_f64 v[44:45], v[74:75], v[44:45]
	v_add_f64 v[52:53], v[52:53], v[56:57]
	;; [unrolled: 1-line block ×3, first 2 shown]
	v_fma_f64 v[56:57], v[106:107], s[4:5], v[94:95]
	v_add_f64 v[62:63], v[62:63], v[68:69]
	v_fma_f64 v[60:61], v[100:101], s[40:41], v[193:194]
	v_add_f64 v[46:47], v[66:67], v[46:47]
	v_fma_f64 v[66:67], v[122:123], s[6:7], -v[116:117]
	v_add_f64 v[44:45], v[70:71], v[44:45]
	v_add_f64 v[52:53], v[58:59], v[52:53]
	v_mad_u64_u32 v[58:59], s[0:1], s2, v178, 0
	v_add_f64 v[54:55], v[64:65], v[54:55]
	v_add_f64 v[88:89], v[56:57], v[62:63]
	v_mov_b32_e32 v56, v59
	v_add_f64 v[46:47], v[60:61], v[46:47]
	v_fma_f64 v[60:61], v[106:107], s[4:5], -v[94:95]
	v_add_f64 v[44:45], v[66:67], v[44:45]
	v_mad_u64_u32 v[56:57], s[0:1], s3, v178, v[56:57]
	v_fma_f64 v[68:69], v[96:97], s[36:37], v[120:121]
	v_add_f64 v[52:53], v[48:49], v[52:53]
	v_mov_b32_e32 v59, v56
	v_add_u32_e32 v56, 0x77, v178
	v_add_f64 v[50:51], v[50:51], v[54:55]
	v_mad_u64_u32 v[54:55], s[0:1], s2, v56, 0
	v_add_f64 v[44:45], v[60:61], v[44:45]
	v_mov_b32_e32 v48, s13
	v_add_co_u32_e32 v60, vcc, s12, v92
	v_add_f64 v[46:47], v[68:69], v[46:47]
	v_addc_co_u32_e32 v61, vcc, v48, v93, vcc
	v_lshlrev_b64 v[48:49], 4, v[58:59]
	v_mad_u64_u32 v[55:56], s[0:1], s3, v56, v[55:56]
	v_add_co_u32_e32 v48, vcc, v60, v48
	v_addc_co_u32_e32 v49, vcc, v61, v49, vcc
	v_add_u32_e32 v58, 0xee, v178
	v_mad_u64_u32 v[56:57], s[0:1], s2, v58, 0
	global_store_dwordx4 v[48:49], v[50:53], off
	v_lshlrev_b64 v[48:49], 4, v[54:55]
	v_fma_f64 v[207:208], v[106:107], s[6:7], -v[207:208]
	v_add_co_u32_e32 v48, vcc, v60, v48
	v_addc_co_u32_e32 v49, vcc, v61, v49, vcc
	v_add_f64 v[179:180], v[197:198], v[179:180]
	v_mov_b32_e32 v50, v57
	global_store_dwordx4 v[48:49], v[44:47], off
	v_add_u32_e32 v48, 0x165, v178
	v_mad_u64_u32 v[50:51], s[0:1], s3, v58, v[50:51]
	v_mad_u64_u32 v[46:47], s[0:1], s2, v48, 0
	v_mov_b32_e32 v57, v50
	v_add_u32_e32 v50, 0x1dc, v178
	v_mad_u64_u32 v[47:48], s[0:1], s3, v48, v[47:48]
	v_lshlrev_b64 v[44:45], 4, v[56:57]
	v_mad_u64_u32 v[48:49], s[0:1], s2, v50, 0
	v_add_f64 v[179:180], v[207:208], v[179:180]
	v_add_co_u32_e32 v44, vcc, v60, v44
	v_addc_co_u32_e32 v45, vcc, v61, v45, vcc
	global_store_dwordx4 v[44:45], v[128:131], off
	v_lshlrev_b64 v[44:45], 4, v[46:47]
	v_mov_b32_e32 v46, v49
	v_mad_u64_u32 v[46:47], s[0:1], s3, v50, v[46:47]
	v_add_co_u32_e32 v44, vcc, v60, v44
	v_addc_co_u32_e32 v45, vcc, v61, v45, vcc
	v_mov_b32_e32 v49, v46
	global_store_dwordx4 v[44:45], v[179:182], off
	v_lshlrev_b64 v[44:45], 4, v[48:49]
	v_add_u32_e32 v48, 0x253, v178
	v_mad_u64_u32 v[46:47], s[0:1], s2, v48, 0
	v_add_co_u32_e32 v44, vcc, v60, v44
	v_mad_u64_u32 v[47:48], s[0:1], s3, v48, v[47:48]
	v_addc_co_u32_e32 v45, vcc, v61, v45, vcc
	v_add_u32_e32 v50, 0x2ca, v178
	v_mad_u64_u32 v[48:49], s[0:1], s2, v50, 0
	global_store_dwordx4 v[44:45], v[40:43], off
	v_fma_f64 v[197:198], v[96:97], s[20:21], v[191:192]
	v_lshlrev_b64 v[40:41], 4, v[46:47]
	v_mov_b32_e32 v42, v49
	v_add_co_u32_e32 v40, vcc, v60, v40
	v_addc_co_u32_e32 v41, vcc, v61, v41, vcc
	global_store_dwordx4 v[40:41], v[32:35], off
	v_add_u32_e32 v40, 0x341, v178
	v_mad_u64_u32 v[42:43], s[0:1], s3, v50, v[42:43]
	v_mad_u64_u32 v[34:35], s[0:1], s2, v40, 0
	v_mov_b32_e32 v49, v42
	v_lshlrev_b64 v[32:33], 4, v[48:49]
	v_mad_u64_u32 v[40:41], s[0:1], s3, v40, v[35:36]
	v_add_co_u32_e32 v32, vcc, v60, v32
	v_add_u32_e32 v43, 0x3b8, v178
	v_addc_co_u32_e32 v33, vcc, v61, v33, vcc
	v_mad_u64_u32 v[41:42], s[0:1], s2, v43, 0
	v_mov_b32_e32 v35, v40
	global_store_dwordx4 v[32:33], v[20:23], off
	v_add_f64 v[189:190], v[223:224], v[189:190]
	v_lshlrev_b64 v[20:21], 4, v[34:35]
	v_mov_b32_e32 v22, v42
	v_add_co_u32_e32 v20, vcc, v60, v20
	v_addc_co_u32_e32 v21, vcc, v61, v21, vcc
	v_mad_u64_u32 v[22:23], s[0:1], s3, v43, v[22:23]
	global_store_dwordx4 v[20:21], v[16:19], off
	v_add_u32_e32 v20, 0x42f, v178
	v_mad_u64_u32 v[18:19], s[0:1], s2, v20, 0
	v_mov_b32_e32 v42, v22
	v_lshlrev_b64 v[16:17], 4, v[41:42]
	v_mad_u64_u32 v[19:20], s[0:1], s3, v20, v[19:20]
	v_add_co_u32_e32 v16, vcc, v60, v16
	v_addc_co_u32_e32 v17, vcc, v61, v17, vcc
	v_add_u32_e32 v22, 0x4a6, v178
	v_mad_u64_u32 v[20:21], s[0:1], s2, v22, 0
	global_store_dwordx4 v[16:17], v[8:11], off
	v_fma_f64 v[223:224], v[106:107], s[10:11], v[221:222]
	v_lshlrev_b64 v[8:9], 4, v[18:19]
	v_mov_b32_e32 v10, v21
	v_add_co_u32_e32 v8, vcc, v60, v8
	v_addc_co_u32_e32 v9, vcc, v61, v9, vcc
	global_store_dwordx4 v[8:9], v[0:3], off
	v_add_u32_e32 v8, 0x51d, v178
	v_mad_u64_u32 v[10:11], s[0:1], s3, v22, v[10:11]
	v_mad_u64_u32 v[2:3], s[0:1], s2, v8, 0
	v_mov_b32_e32 v21, v10
	v_add_u32_e32 v11, 0x594, v178
	v_mad_u64_u32 v[8:9], s[0:1], s3, v8, v[3:4]
	v_lshlrev_b64 v[0:1], 4, v[20:21]
	v_mad_u64_u32 v[9:10], s[0:1], s2, v11, 0
	v_add_co_u32_e32 v0, vcc, v60, v0
	v_addc_co_u32_e32 v1, vcc, v61, v1, vcc
	v_mov_b32_e32 v3, v8
	global_store_dwordx4 v[0:1], v[4:7], off
	v_lshlrev_b64 v[0:1], 4, v[2:3]
	v_mov_b32_e32 v2, v10
	v_mad_u64_u32 v[2:3], s[0:1], s3, v11, v[2:3]
	v_add_u32_e32 v4, 0x60b, v178
	v_add_co_u32_e32 v0, vcc, v60, v0
	v_mov_b32_e32 v10, v2
	v_mad_u64_u32 v[2:3], s[0:1], s2, v4, 0
	v_addc_co_u32_e32 v1, vcc, v61, v1, vcc
	v_mad_u64_u32 v[3:4], s[0:1], s3, v4, v[3:4]
	v_add_u32_e32 v6, 0x682, v178
	global_store_dwordx4 v[0:1], v[12:15], off
	v_lshlrev_b64 v[0:1], 4, v[9:10]
	v_mad_u64_u32 v[4:5], s[0:1], s2, v6, 0
	v_add_co_u32_e32 v0, vcc, v60, v0
	v_addc_co_u32_e32 v1, vcc, v61, v1, vcc
	global_store_dwordx4 v[0:1], v[24:27], off
	v_lshlrev_b64 v[0:1], 4, v[2:3]
	v_mov_b32_e32 v2, v5
	v_mad_u64_u32 v[2:3], s[0:1], s3, v6, v[2:3]
	v_add_co_u32_e32 v0, vcc, v60, v0
	v_addc_co_u32_e32 v1, vcc, v61, v1, vcc
	v_mov_b32_e32 v5, v2
	global_store_dwordx4 v[0:1], v[28:31], off
	v_lshlrev_b64 v[0:1], 4, v[4:5]
	v_add_u32_e32 v4, 0x6f9, v178
	v_mad_u64_u32 v[2:3], s[0:1], s2, v4, 0
	v_add_u32_e32 v6, 0x770, v178
	v_add_f64 v[126:127], v[197:198], v[189:190]
	v_mad_u64_u32 v[3:4], s[0:1], s3, v4, v[3:4]
	v_mad_u64_u32 v[4:5], s[0:1], s2, v6, 0
	v_add_f64 v[124:125], v[223:224], v[201:202]
	v_add_co_u32_e32 v0, vcc, v60, v0
	v_addc_co_u32_e32 v1, vcc, v61, v1, vcc
	global_store_dwordx4 v[0:1], v[36:39], off
	v_lshlrev_b64 v[0:1], 4, v[2:3]
	v_mov_b32_e32 v2, v5
	v_mad_u64_u32 v[2:3], s[0:1], s3, v6, v[2:3]
	v_add_co_u32_e32 v0, vcc, v60, v0
	v_addc_co_u32_e32 v1, vcc, v61, v1, vcc
	v_mov_b32_e32 v5, v2
	global_store_dwordx4 v[0:1], v[124:127], off
	v_lshlrev_b64 v[0:1], 4, v[4:5]
	v_add_co_u32_e32 v0, vcc, v60, v0
	v_addc_co_u32_e32 v1, vcc, v61, v1, vcc
	global_store_dwordx4 v[0:1], v[88:91], off
.LBB0_23:
	s_endpgm
	.section	.rodata,"a",@progbits
	.p2align	6, 0x0
	.amdhsa_kernel fft_rtc_fwd_len2023_factors_17_7_17_wgs_119_tpt_119_halfLds_dp_ip_CI_sbrr_dirReg
		.amdhsa_group_segment_fixed_size 0
		.amdhsa_private_segment_fixed_size 0
		.amdhsa_kernarg_size 88
		.amdhsa_user_sgpr_count 6
		.amdhsa_user_sgpr_private_segment_buffer 1
		.amdhsa_user_sgpr_dispatch_ptr 0
		.amdhsa_user_sgpr_queue_ptr 0
		.amdhsa_user_sgpr_kernarg_segment_ptr 1
		.amdhsa_user_sgpr_dispatch_id 0
		.amdhsa_user_sgpr_flat_scratch_init 0
		.amdhsa_user_sgpr_private_segment_size 0
		.amdhsa_uses_dynamic_stack 0
		.amdhsa_system_sgpr_private_segment_wavefront_offset 0
		.amdhsa_system_sgpr_workgroup_id_x 1
		.amdhsa_system_sgpr_workgroup_id_y 0
		.amdhsa_system_sgpr_workgroup_id_z 0
		.amdhsa_system_sgpr_workgroup_info 0
		.amdhsa_system_vgpr_workitem_id 0
		.amdhsa_next_free_vgpr 229
		.amdhsa_next_free_sgpr 60
		.amdhsa_reserve_vcc 1
		.amdhsa_reserve_flat_scratch 0
		.amdhsa_float_round_mode_32 0
		.amdhsa_float_round_mode_16_64 0
		.amdhsa_float_denorm_mode_32 3
		.amdhsa_float_denorm_mode_16_64 3
		.amdhsa_dx10_clamp 1
		.amdhsa_ieee_mode 1
		.amdhsa_fp16_overflow 0
		.amdhsa_exception_fp_ieee_invalid_op 0
		.amdhsa_exception_fp_denorm_src 0
		.amdhsa_exception_fp_ieee_div_zero 0
		.amdhsa_exception_fp_ieee_overflow 0
		.amdhsa_exception_fp_ieee_underflow 0
		.amdhsa_exception_fp_ieee_inexact 0
		.amdhsa_exception_int_div_zero 0
	.end_amdhsa_kernel
	.text
.Lfunc_end0:
	.size	fft_rtc_fwd_len2023_factors_17_7_17_wgs_119_tpt_119_halfLds_dp_ip_CI_sbrr_dirReg, .Lfunc_end0-fft_rtc_fwd_len2023_factors_17_7_17_wgs_119_tpt_119_halfLds_dp_ip_CI_sbrr_dirReg
                                        ; -- End function
	.section	.AMDGPU.csdata,"",@progbits
; Kernel info:
; codeLenInByte = 20012
; NumSgprs: 64
; NumVgprs: 229
; ScratchSize: 0
; MemoryBound: 1
; FloatMode: 240
; IeeeMode: 1
; LDSByteSize: 0 bytes/workgroup (compile time only)
; SGPRBlocks: 7
; VGPRBlocks: 57
; NumSGPRsForWavesPerEU: 64
; NumVGPRsForWavesPerEU: 229
; Occupancy: 1
; WaveLimiterHint : 1
; COMPUTE_PGM_RSRC2:SCRATCH_EN: 0
; COMPUTE_PGM_RSRC2:USER_SGPR: 6
; COMPUTE_PGM_RSRC2:TRAP_HANDLER: 0
; COMPUTE_PGM_RSRC2:TGID_X_EN: 1
; COMPUTE_PGM_RSRC2:TGID_Y_EN: 0
; COMPUTE_PGM_RSRC2:TGID_Z_EN: 0
; COMPUTE_PGM_RSRC2:TIDIG_COMP_CNT: 0
	.type	__hip_cuid_f5b16f117f6feaf,@object ; @__hip_cuid_f5b16f117f6feaf
	.section	.bss,"aw",@nobits
	.globl	__hip_cuid_f5b16f117f6feaf
__hip_cuid_f5b16f117f6feaf:
	.byte	0                               ; 0x0
	.size	__hip_cuid_f5b16f117f6feaf, 1

	.ident	"AMD clang version 19.0.0git (https://github.com/RadeonOpenCompute/llvm-project roc-6.4.0 25133 c7fe45cf4b819c5991fe208aaa96edf142730f1d)"
	.section	".note.GNU-stack","",@progbits
	.addrsig
	.addrsig_sym __hip_cuid_f5b16f117f6feaf
	.amdgpu_metadata
---
amdhsa.kernels:
  - .args:
      - .actual_access:  read_only
        .address_space:  global
        .offset:         0
        .size:           8
        .value_kind:     global_buffer
      - .offset:         8
        .size:           8
        .value_kind:     by_value
      - .actual_access:  read_only
        .address_space:  global
        .offset:         16
        .size:           8
        .value_kind:     global_buffer
      - .actual_access:  read_only
        .address_space:  global
        .offset:         24
        .size:           8
        .value_kind:     global_buffer
      - .offset:         32
        .size:           8
        .value_kind:     by_value
      - .actual_access:  read_only
        .address_space:  global
        .offset:         40
        .size:           8
        .value_kind:     global_buffer
      - .actual_access:  read_only
        .address_space:  global
        .offset:         48
        .size:           8
        .value_kind:     global_buffer
      - .offset:         56
        .size:           4
        .value_kind:     by_value
      - .actual_access:  read_only
        .address_space:  global
        .offset:         64
        .size:           8
        .value_kind:     global_buffer
      - .actual_access:  read_only
        .address_space:  global
        .offset:         72
        .size:           8
        .value_kind:     global_buffer
      - .address_space:  global
        .offset:         80
        .size:           8
        .value_kind:     global_buffer
    .group_segment_fixed_size: 0
    .kernarg_segment_align: 8
    .kernarg_segment_size: 88
    .language:       OpenCL C
    .language_version:
      - 2
      - 0
    .max_flat_workgroup_size: 119
    .name:           fft_rtc_fwd_len2023_factors_17_7_17_wgs_119_tpt_119_halfLds_dp_ip_CI_sbrr_dirReg
    .private_segment_fixed_size: 0
    .sgpr_count:     64
    .sgpr_spill_count: 0
    .symbol:         fft_rtc_fwd_len2023_factors_17_7_17_wgs_119_tpt_119_halfLds_dp_ip_CI_sbrr_dirReg.kd
    .uniform_work_group_size: 1
    .uses_dynamic_stack: false
    .vgpr_count:     229
    .vgpr_spill_count: 0
    .wavefront_size: 64
amdhsa.target:   amdgcn-amd-amdhsa--gfx906
amdhsa.version:
  - 1
  - 2
...

	.end_amdgpu_metadata
